;; amdgpu-corpus repo=ROCm/rocFFT kind=compiled arch=gfx906 opt=O3
	.text
	.amdgcn_target "amdgcn-amd-amdhsa--gfx906"
	.amdhsa_code_object_version 6
	.protected	fft_rtc_back_len2040_factors_17_4_3_10_wgs_170_tpt_170_halfLds_half_ip_CI_unitstride_sbrr_R2C_dirReg ; -- Begin function fft_rtc_back_len2040_factors_17_4_3_10_wgs_170_tpt_170_halfLds_half_ip_CI_unitstride_sbrr_R2C_dirReg
	.globl	fft_rtc_back_len2040_factors_17_4_3_10_wgs_170_tpt_170_halfLds_half_ip_CI_unitstride_sbrr_R2C_dirReg
	.p2align	8
	.type	fft_rtc_back_len2040_factors_17_4_3_10_wgs_170_tpt_170_halfLds_half_ip_CI_unitstride_sbrr_R2C_dirReg,@function
fft_rtc_back_len2040_factors_17_4_3_10_wgs_170_tpt_170_halfLds_half_ip_CI_unitstride_sbrr_R2C_dirReg: ; @fft_rtc_back_len2040_factors_17_4_3_10_wgs_170_tpt_170_halfLds_half_ip_CI_unitstride_sbrr_R2C_dirReg
; %bb.0:
	s_load_dwordx2 s[2:3], s[4:5], 0x50
	s_load_dwordx4 s[8:11], s[4:5], 0x0
	s_load_dwordx2 s[12:13], s[4:5], 0x18
	v_mul_u32_u24_e32 v1, 0x182, v0
	v_add_u32_sdwa v5, s6, v1 dst_sel:DWORD dst_unused:UNUSED_PAD src0_sel:DWORD src1_sel:WORD_1
	v_mov_b32_e32 v3, 0
	s_waitcnt lgkmcnt(0)
	v_cmp_lt_u64_e64 s[0:1], s[10:11], 2
	v_mov_b32_e32 v1, 0
	v_mov_b32_e32 v6, v3
	s_and_b64 vcc, exec, s[0:1]
	v_mov_b32_e32 v2, 0
	s_cbranch_vccnz .LBB0_8
; %bb.1:
	s_load_dwordx2 s[0:1], s[4:5], 0x10
	s_add_u32 s6, s12, 8
	s_addc_u32 s7, s13, 0
	v_mov_b32_e32 v1, 0
	v_mov_b32_e32 v2, 0
	s_waitcnt lgkmcnt(0)
	s_add_u32 s14, s0, 8
	s_addc_u32 s15, s1, 0
	s_mov_b64 s[16:17], 1
.LBB0_2:                                ; =>This Inner Loop Header: Depth=1
	s_load_dwordx2 s[18:19], s[14:15], 0x0
                                        ; implicit-def: $vgpr7_vgpr8
	s_waitcnt lgkmcnt(0)
	v_or_b32_e32 v4, s19, v6
	v_cmp_ne_u64_e32 vcc, 0, v[3:4]
	s_and_saveexec_b64 s[0:1], vcc
	s_xor_b64 s[20:21], exec, s[0:1]
	s_cbranch_execz .LBB0_4
; %bb.3:                                ;   in Loop: Header=BB0_2 Depth=1
	v_cvt_f32_u32_e32 v4, s18
	v_cvt_f32_u32_e32 v7, s19
	s_sub_u32 s0, 0, s18
	s_subb_u32 s1, 0, s19
	v_mac_f32_e32 v4, 0x4f800000, v7
	v_rcp_f32_e32 v4, v4
	v_mul_f32_e32 v4, 0x5f7ffffc, v4
	v_mul_f32_e32 v7, 0x2f800000, v4
	v_trunc_f32_e32 v7, v7
	v_mac_f32_e32 v4, 0xcf800000, v7
	v_cvt_u32_f32_e32 v7, v7
	v_cvt_u32_f32_e32 v4, v4
	v_mul_lo_u32 v8, s0, v7
	v_mul_hi_u32 v9, s0, v4
	v_mul_lo_u32 v11, s1, v4
	v_mul_lo_u32 v10, s0, v4
	v_add_u32_e32 v8, v9, v8
	v_add_u32_e32 v8, v8, v11
	v_mul_hi_u32 v9, v4, v10
	v_mul_lo_u32 v11, v4, v8
	v_mul_hi_u32 v13, v4, v8
	v_mul_hi_u32 v12, v7, v10
	v_mul_lo_u32 v10, v7, v10
	v_mul_hi_u32 v14, v7, v8
	v_add_co_u32_e32 v9, vcc, v9, v11
	v_addc_co_u32_e32 v11, vcc, 0, v13, vcc
	v_mul_lo_u32 v8, v7, v8
	v_add_co_u32_e32 v9, vcc, v9, v10
	v_addc_co_u32_e32 v9, vcc, v11, v12, vcc
	v_addc_co_u32_e32 v10, vcc, 0, v14, vcc
	v_add_co_u32_e32 v8, vcc, v9, v8
	v_addc_co_u32_e32 v9, vcc, 0, v10, vcc
	v_add_co_u32_e32 v4, vcc, v4, v8
	v_addc_co_u32_e32 v7, vcc, v7, v9, vcc
	v_mul_lo_u32 v8, s0, v7
	v_mul_hi_u32 v9, s0, v4
	v_mul_lo_u32 v10, s1, v4
	v_mul_lo_u32 v11, s0, v4
	v_add_u32_e32 v8, v9, v8
	v_add_u32_e32 v8, v8, v10
	v_mul_lo_u32 v12, v4, v8
	v_mul_hi_u32 v13, v4, v11
	v_mul_hi_u32 v14, v4, v8
	;; [unrolled: 1-line block ×3, first 2 shown]
	v_mul_lo_u32 v11, v7, v11
	v_mul_hi_u32 v9, v7, v8
	v_add_co_u32_e32 v12, vcc, v13, v12
	v_addc_co_u32_e32 v13, vcc, 0, v14, vcc
	v_mul_lo_u32 v8, v7, v8
	v_add_co_u32_e32 v11, vcc, v12, v11
	v_addc_co_u32_e32 v10, vcc, v13, v10, vcc
	v_addc_co_u32_e32 v9, vcc, 0, v9, vcc
	v_add_co_u32_e32 v8, vcc, v10, v8
	v_addc_co_u32_e32 v9, vcc, 0, v9, vcc
	v_add_co_u32_e32 v4, vcc, v4, v8
	v_addc_co_u32_e32 v9, vcc, v7, v9, vcc
	v_mad_u64_u32 v[7:8], s[0:1], v5, v9, 0
	v_mul_hi_u32 v10, v5, v4
	v_add_co_u32_e32 v11, vcc, v10, v7
	v_addc_co_u32_e32 v12, vcc, 0, v8, vcc
	v_mad_u64_u32 v[7:8], s[0:1], v6, v4, 0
	v_mad_u64_u32 v[9:10], s[0:1], v6, v9, 0
	v_add_co_u32_e32 v4, vcc, v11, v7
	v_addc_co_u32_e32 v4, vcc, v12, v8, vcc
	v_addc_co_u32_e32 v7, vcc, 0, v10, vcc
	v_add_co_u32_e32 v4, vcc, v4, v9
	v_addc_co_u32_e32 v9, vcc, 0, v7, vcc
	v_mul_lo_u32 v10, s19, v4
	v_mul_lo_u32 v11, s18, v9
	v_mad_u64_u32 v[7:8], s[0:1], s18, v4, 0
	v_add3_u32 v8, v8, v11, v10
	v_sub_u32_e32 v10, v6, v8
	v_mov_b32_e32 v11, s19
	v_sub_co_u32_e32 v7, vcc, v5, v7
	v_subb_co_u32_e64 v10, s[0:1], v10, v11, vcc
	v_subrev_co_u32_e64 v11, s[0:1], s18, v7
	v_subbrev_co_u32_e64 v10, s[0:1], 0, v10, s[0:1]
	v_cmp_le_u32_e64 s[0:1], s19, v10
	v_cndmask_b32_e64 v12, 0, -1, s[0:1]
	v_cmp_le_u32_e64 s[0:1], s18, v11
	v_cndmask_b32_e64 v11, 0, -1, s[0:1]
	v_cmp_eq_u32_e64 s[0:1], s19, v10
	v_cndmask_b32_e64 v10, v12, v11, s[0:1]
	v_add_co_u32_e64 v11, s[0:1], 2, v4
	v_addc_co_u32_e64 v12, s[0:1], 0, v9, s[0:1]
	v_add_co_u32_e64 v13, s[0:1], 1, v4
	v_addc_co_u32_e64 v14, s[0:1], 0, v9, s[0:1]
	v_subb_co_u32_e32 v8, vcc, v6, v8, vcc
	v_cmp_ne_u32_e64 s[0:1], 0, v10
	v_cmp_le_u32_e32 vcc, s19, v8
	v_cndmask_b32_e64 v10, v14, v12, s[0:1]
	v_cndmask_b32_e64 v12, 0, -1, vcc
	v_cmp_le_u32_e32 vcc, s18, v7
	v_cndmask_b32_e64 v7, 0, -1, vcc
	v_cmp_eq_u32_e32 vcc, s19, v8
	v_cndmask_b32_e32 v7, v12, v7, vcc
	v_cmp_ne_u32_e32 vcc, 0, v7
	v_cndmask_b32_e64 v7, v13, v11, s[0:1]
	v_cndmask_b32_e32 v8, v9, v10, vcc
	v_cndmask_b32_e32 v7, v4, v7, vcc
.LBB0_4:                                ;   in Loop: Header=BB0_2 Depth=1
	s_andn2_saveexec_b64 s[0:1], s[20:21]
	s_cbranch_execz .LBB0_6
; %bb.5:                                ;   in Loop: Header=BB0_2 Depth=1
	v_cvt_f32_u32_e32 v4, s18
	s_sub_i32 s20, 0, s18
	v_rcp_iflag_f32_e32 v4, v4
	v_mul_f32_e32 v4, 0x4f7ffffe, v4
	v_cvt_u32_f32_e32 v4, v4
	v_mul_lo_u32 v7, s20, v4
	v_mul_hi_u32 v7, v4, v7
	v_add_u32_e32 v4, v4, v7
	v_mul_hi_u32 v4, v5, v4
	v_mul_lo_u32 v7, v4, s18
	v_add_u32_e32 v8, 1, v4
	v_sub_u32_e32 v7, v5, v7
	v_subrev_u32_e32 v9, s18, v7
	v_cmp_le_u32_e32 vcc, s18, v7
	v_cndmask_b32_e32 v7, v7, v9, vcc
	v_cndmask_b32_e32 v4, v4, v8, vcc
	v_add_u32_e32 v8, 1, v4
	v_cmp_le_u32_e32 vcc, s18, v7
	v_cndmask_b32_e32 v7, v4, v8, vcc
	v_mov_b32_e32 v8, v3
.LBB0_6:                                ;   in Loop: Header=BB0_2 Depth=1
	s_or_b64 exec, exec, s[0:1]
	v_mul_lo_u32 v4, v8, s18
	v_mul_lo_u32 v11, v7, s19
	v_mad_u64_u32 v[9:10], s[0:1], v7, s18, 0
	s_load_dwordx2 s[0:1], s[6:7], 0x0
	s_add_u32 s16, s16, 1
	v_add3_u32 v4, v10, v11, v4
	v_sub_co_u32_e32 v5, vcc, v5, v9
	v_subb_co_u32_e32 v4, vcc, v6, v4, vcc
	s_waitcnt lgkmcnt(0)
	v_mul_lo_u32 v4, s0, v4
	v_mul_lo_u32 v6, s1, v5
	v_mad_u64_u32 v[1:2], s[0:1], s0, v5, v[1:2]
	s_addc_u32 s17, s17, 0
	s_add_u32 s6, s6, 8
	v_add3_u32 v2, v6, v2, v4
	v_mov_b32_e32 v4, s10
	v_mov_b32_e32 v5, s11
	s_addc_u32 s7, s7, 0
	v_cmp_ge_u64_e32 vcc, s[16:17], v[4:5]
	s_add_u32 s14, s14, 8
	s_addc_u32 s15, s15, 0
	s_cbranch_vccnz .LBB0_9
; %bb.7:                                ;   in Loop: Header=BB0_2 Depth=1
	v_mov_b32_e32 v5, v7
	v_mov_b32_e32 v6, v8
	s_branch .LBB0_2
.LBB0_8:
	v_mov_b32_e32 v8, v6
	v_mov_b32_e32 v7, v5
.LBB0_9:
	s_lshl_b64 s[0:1], s[10:11], 3
	s_add_u32 s0, s12, s0
	s_addc_u32 s1, s13, s1
	s_load_dwordx2 s[6:7], s[0:1], 0x0
	s_load_dwordx2 s[10:11], s[4:5], 0x20
	s_waitcnt lgkmcnt(0)
	v_mad_u64_u32 v[1:2], s[0:1], s6, v7, v[1:2]
	s_mov_b32 s0, 0x1818182
	v_mul_lo_u32 v3, s6, v8
	v_mul_lo_u32 v4, s7, v7
	v_mul_hi_u32 v5, v0, s0
	v_cmp_gt_u64_e64 s[0:1], s[10:11], v[7:8]
	v_add3_u32 v2, v4, v2, v3
	v_mul_u32_u24_e32 v3, 0xaa, v5
	v_sub_u32_e32 v0, v0, v3
	v_lshlrev_b64 v[2:3], 2, v[1:2]
	v_lshl_add_u32 v25, v0, 2, 0
	s_and_saveexec_b64 s[4:5], s[0:1]
	s_cbranch_execz .LBB0_11
; %bb.10:
	v_mov_b32_e32 v1, 0
	v_mov_b32_e32 v4, s3
	v_add_co_u32_e32 v6, vcc, s2, v2
	v_addc_co_u32_e32 v7, vcc, v4, v3, vcc
	v_lshlrev_b64 v[4:5], 2, v[0:1]
	v_add_u32_e32 v19, 0x1a00, v25
	v_add_co_u32_e32 v4, vcc, v6, v4
	v_addc_co_u32_e32 v5, vcc, v7, v5, vcc
	v_add_co_u32_e32 v6, vcc, 0x1000, v4
	v_addc_co_u32_e32 v7, vcc, 0, v5, vcc
	global_load_dword v1, v[4:5], off
	global_load_dword v8, v[4:5], off offset:680
	global_load_dword v9, v[4:5], off offset:1360
	;; [unrolled: 1-line block ×11, first 2 shown]
	v_add_u32_e32 v4, 0x400, v25
	v_add_u32_e32 v5, 0xa00, v25
	v_add_u32_e32 v6, 0xf00, v25
	v_add_u32_e32 v7, 0x1400, v25
	s_waitcnt vmcnt(10)
	ds_write2_b32 v25, v1, v8 offset1:170
	s_waitcnt vmcnt(8)
	ds_write2_b32 v4, v9, v10 offset0:84 offset1:254
	s_waitcnt vmcnt(6)
	ds_write2_b32 v5, v11, v12 offset0:40 offset1:210
	;; [unrolled: 2-line block ×5, first 2 shown]
.LBB0_11:
	s_or_b64 exec, exec, s[4:5]
	s_waitcnt lgkmcnt(0)
	s_barrier
	ds_read2_b32 v[9:10], v25 offset1:120
	ds_read_b32 v35, v25 offset:7680
	v_add_u32_e32 v31, 0x1a00, v25
	v_add_u32_e32 v1, 0x200, v25
	ds_read2_b32 v[11:12], v31 offset0:16 offset1:136
	ds_read2_b32 v[13:14], v1 offset0:112 offset1:232
	s_waitcnt lgkmcnt(2)
	v_pk_add_f16 v33, v10, v35 neg_lo:[0,1] neg_hi:[0,1]
	s_mov_b32 s25, 0xb964
	v_pk_add_f16 v34, v35, v10
	s_movk_i32 s6, 0x39e9
	v_mul_f16_sdwa v39, v33, s25 dst_sel:DWORD dst_unused:UNUSED_PAD src0_sel:WORD_1 src1_sel:DWORD
	s_mov_b32 s23, 0xbbf7
	s_waitcnt lgkmcnt(0)
	v_pk_add_f16 v36, v13, v12 neg_lo:[0,1] neg_hi:[0,1]
	v_fma_f16 v1, v34, s6, -v39
	s_mov_b32 s4, 0xbb29
	s_movk_i32 s10, 0x2de8
	v_pk_add_f16 v37, v12, v13
	v_mul_f16_sdwa v42, v36, s23 dst_sel:DWORD dst_unused:UNUSED_PAD src0_sel:WORD_1 src1_sel:DWORD
	v_add_f16_e32 v1, v9, v1
	s_movk_i32 s7, 0x3722
	v_mul_f16_sdwa v43, v33, s4 dst_sel:DWORD dst_unused:UNUSED_PAD src0_sel:WORD_1 src1_sel:DWORD
	v_fma_f16 v4, v37, s10, -v42
	s_mov_b32 s11, 0xba62
	v_add_f16_e32 v1, v4, v1
	v_fma_f16 v4, v34, s7, -v43
	s_mov_b32 s12, 0xb8d2
	v_mul_f16_sdwa v48, v36, s11 dst_sel:DWORD dst_unused:UNUSED_PAD src0_sel:WORD_1 src1_sel:DWORD
	v_pk_add_f16 v38, v14, v11 neg_lo:[0,1] neg_hi:[0,1]
	v_add_f16_e32 v4, v9, v4
	v_fma_f16 v5, v37, s12, -v48
	v_pk_add_f16 v40, v11, v14
	v_mul_f16_sdwa v46, v38, s11 dst_sel:DWORD dst_unused:UNUSED_PAD src0_sel:WORD_1 src1_sel:DWORD
	v_add_f16_e32 v4, v5, v4
	v_fma_f16 v5, v40, s12, -v46
	v_add_f16_e32 v1, v5, v1
	v_add_u32_e32 v5, 0x1600, v25
	v_add_u32_e32 v30, 0x600, v25
	ds_read2_b32 v[15:16], v5 offset0:32 offset1:152
	ds_read2_b32 v[17:18], v30 offset0:96 offset1:216
	s_movk_i32 s5, 0x31e1
	s_mov_b32 s14, 0xbbdd
	v_mul_f16_sdwa v52, v38, s5 dst_sel:DWORD dst_unused:UNUSED_PAD src0_sel:WORD_1 src1_sel:DWORD
	s_mov_b32 s13, 0xb1e1
	s_waitcnt lgkmcnt(0)
	v_pk_add_f16 v41, v17, v16 neg_lo:[0,1] neg_hi:[0,1]
	v_fma_f16 v5, v40, s14, -v52
	v_pk_add_f16 v44, v16, v17
	v_mul_f16_sdwa v51, v41, s13 dst_sel:DWORD dst_unused:UNUSED_PAD src0_sel:WORD_1 src1_sel:DWORD
	s_movk_i32 s26, 0x3bb2
	v_add_f16_e32 v4, v5, v4
	v_fma_f16 v5, v44, s14, -v51
	s_mov_b32 s15, 0xb461
	v_mul_f16_sdwa v56, v41, s26 dst_sel:DWORD dst_unused:UNUSED_PAD src0_sel:WORD_1 src1_sel:DWORD
	s_movk_i32 s29, 0x3836
	v_pk_add_f16 v45, v18, v15 neg_lo:[0,1] neg_hi:[0,1]
	v_add_f16_e32 v1, v5, v1
	v_fma_f16 v5, v44, s15, -v56
	s_mov_b32 s16, 0xbacd
	v_pk_add_f16 v47, v15, v18
	v_mul_f16_sdwa v54, v45, s29 dst_sel:DWORD dst_unused:UNUSED_PAD src0_sel:WORD_1 src1_sel:DWORD
	v_add_f16_e32 v4, v5, v4
	v_fma_f16 v5, v47, s16, -v54
	v_add_f16_e32 v1, v5, v1
	v_add_u32_e32 v5, 0x1200, v25
	v_add_u32_e32 v32, 0xa00, v25
	ds_read2_b32 v[19:20], v5 offset0:48 offset1:168
	ds_read2_b32 v[21:22], v32 offset0:80 offset1:200
	s_movk_i32 s17, 0x3964
	v_mul_f16_sdwa v60, v45, s17 dst_sel:DWORD dst_unused:UNUSED_PAD src0_sel:WORD_1 src1_sel:DWORD
	v_fma_f16 v5, v47, s6, -v60
	s_mov_b32 s27, 0xb5c8
	s_waitcnt lgkmcnt(0)
	v_pk_add_f16 v49, v21, v20 neg_lo:[0,1] neg_hi:[0,1]
	v_pk_add_f16 v50, v20, v21
	v_mul_f16_sdwa v59, v49, s26 dst_sel:DWORD dst_unused:UNUSED_PAD src0_sel:WORD_1 src1_sel:DWORD
	v_add_f16_e32 v4, v5, v4
	v_fma_f16 v5, v50, s15, -v59
	s_movk_i32 s19, 0x3b76
	v_mul_f16_sdwa v62, v49, s27 dst_sel:DWORD dst_unused:UNUSED_PAD src0_sel:WORD_1 src1_sel:DWORD
	s_movk_i32 s18, 0x3b29
	v_pk_add_f16 v53, v22, v19 neg_lo:[0,1] neg_hi:[0,1]
	v_add_f16_e32 v1, v5, v1
	v_fma_f16 v5, v50, s19, -v62
	v_pk_add_f16 v55, v19, v22
	v_mul_f16_sdwa v61, v53, s18 dst_sel:DWORD dst_unused:UNUSED_PAD src0_sel:WORD_1 src1_sel:DWORD
	v_add_f16_e32 v4, v5, v4
	v_fma_f16 v5, v55, s7, -v61
	v_add_f16_e32 v1, v5, v1
	v_add_u32_e32 v5, 0xe00, v25
	ds_read2_b32 v[23:24], v5 offset0:64 offset1:184
	v_mul_f16_sdwa v63, v53, s23 dst_sel:DWORD dst_unused:UNUSED_PAD src0_sel:WORD_1 src1_sel:DWORD
	s_movk_i32 s21, 0x35c8
	v_fma_f16 v5, v55, s10, -v63
	s_mov_b32 s20, 0xb836
	s_waitcnt lgkmcnt(0)
	v_pk_add_f16 v57, v23, v24 neg_lo:[0,1] neg_hi:[0,1]
	v_pk_add_f16 v58, v24, v23
	v_mul_f16_sdwa v64, v57, s21 dst_sel:DWORD dst_unused:UNUSED_PAD src0_sel:WORD_1 src1_sel:DWORD
	v_add_f16_e32 v4, v5, v4
	v_fma_f16 v5, v58, s19, -v64
	v_mul_f16_sdwa v65, v57, s20 dst_sel:DWORD dst_unused:UNUSED_PAD src0_sel:WORD_1 src1_sel:DWORD
	v_add_f16_e32 v5, v5, v1
	v_fma_f16 v1, v58, s16, -v65
	;; [unrolled: 3-line block ×3, first 2 shown]
	v_mul_f16_sdwa v67, v36, s13 dst_sel:DWORD dst_unused:UNUSED_PAD src0_sel:WORD_1 src1_sel:DWORD
	s_mov_b32 s22, 0xbbb2
	v_add_f16_e32 v1, v9, v1
	v_fma_f16 v6, v37, s14, -v67
	v_mul_f16_sdwa v77, v33, s22 dst_sel:DWORD dst_unused:UNUSED_PAD src0_sel:WORD_1 src1_sel:DWORD
	v_add_f16_e32 v1, v6, v1
	v_fma_f16 v6, v34, s15, -v77
	v_mul_f16_sdwa v78, v36, s29 dst_sel:DWORD dst_unused:UNUSED_PAD src0_sel:WORD_1 src1_sel:DWORD
	;; [unrolled: 3-line block ×9, first 2 shown]
	s_movk_i32 s24, 0x3bf7
	v_add_f16_e32 v6, v7, v6
	v_fma_f16 v7, v50, s16, -v73
	v_mul_f16_sdwa v86, v49, s24 dst_sel:DWORD dst_unused:UNUSED_PAD src0_sel:WORD_1 src1_sel:DWORD
	s_movk_i32 s28, 0x3a62
	v_add_f16_e32 v1, v7, v1
	v_fma_f16 v7, v50, s10, -v86
	v_mul_f16_sdwa v74, v53, s28 dst_sel:DWORD dst_unused:UNUSED_PAD src0_sel:WORD_1 src1_sel:DWORD
	v_add_f16_e32 v6, v7, v6
	v_fma_f16 v7, v55, s12, -v74
	v_mul_f16_sdwa v87, v53, s27 dst_sel:DWORD dst_unused:UNUSED_PAD src0_sel:WORD_1 src1_sel:DWORD
	;; [unrolled: 3-line block ×4, first 2 shown]
	v_lshrrev_b32_e32 v123, 16, v34
	v_add_f16_e32 v7, v7, v1
	v_fma_f16 v1, v58, s12, -v90
	v_mul_f16_e32 v69, 0x39e9, v123
	v_lshrrev_b32_e32 v124, 16, v37
	v_add_f16_e32 v6, v1, v6
	v_fma_f16 v1, v33, s25, v69
	v_mul_f16_e32 v70, 0x2de8, v124
	v_add_f16_sdwa v1, v9, v1 dst_sel:DWORD dst_unused:UNUSED_PAD src0_sel:WORD_1 src1_sel:DWORD
	v_fma_f16 v8, v36, s23, v70
	v_mul_f16_e32 v82, 0x3722, v123
	v_add_f16_e32 v1, v8, v1
	v_fma_f16 v8, v33, s4, v82
	v_mul_f16_e32 v83, 0xb8d2, v124
	v_add_f16_sdwa v8, v9, v8 dst_sel:DWORD dst_unused:UNUSED_PAD src0_sel:WORD_1 src1_sel:DWORD
	v_fma_f16 v26, v36, s11, v83
	v_mul_f16_e32 v99, 0x2de8, v123
	;; [unrolled: 6-line block ×3, first 2 shown]
	v_add_f16_e32 v26, v27, v26
	v_fma_f16 v27, v33, s22, v119
	v_mul_f16_e32 v120, 0xbacd, v124
	v_lshrrev_b32_e32 v129, 16, v40
	v_add_f16_sdwa v27, v9, v27 dst_sel:DWORD dst_unused:UNUSED_PAD src0_sel:WORD_1 src1_sel:DWORD
	v_fma_f16 v28, v36, s29, v120
	v_mul_f16_e32 v75, 0xb8d2, v129
	v_add_f16_e32 v27, v28, v27
	v_fma_f16 v28, v38, s11, v75
	v_mul_f16_e32 v89, 0xbbdd, v129
	v_add_f16_e32 v1, v28, v1
	v_fma_f16 v28, v38, s5, v89
	v_mul_f16_e32 v112, 0xb461, v129
	v_add_f16_e32 v8, v28, v8
	v_fma_f16 v28, v38, s26, v112
	v_mul_f16_e32 v122, 0x39e9, v129
	v_lshrrev_b32_e32 v131, 16, v44
	v_add_f16_e32 v26, v28, v26
	v_fma_f16 v28, v38, s17, v122
	v_mul_f16_e32 v79, 0xbbdd, v131
	v_add_f16_e32 v27, v28, v27
	v_fma_f16 v28, v41, s13, v79
	v_mul_f16_e32 v92, 0xb461, v131
	v_add_f16_e32 v1, v28, v1
	v_fma_f16 v28, v41, s26, v92
	v_mul_f16_e32 v116, 0x3b76, v131
	v_add_f16_e32 v8, v28, v8
	v_fma_f16 v28, v41, s21, v116
	v_mul_f16_e32 v126, 0x3722, v131
	v_lshrrev_b32_e32 v133, 16, v47
	v_add_f16_e32 v26, v28, v26
	v_fma_f16 v28, v41, s4, v126
	v_mul_f16_e32 v85, 0xbacd, v133
	v_add_f16_e32 v27, v28, v27
	v_fma_f16 v28, v45, s29, v85
	v_mul_f16_e32 v105, 0x39e9, v133
	v_add_f16_e32 v1, v28, v1
	v_fma_f16 v28, v45, s17, v105
	v_mul_f16_e32 v118, 0x3722, v133
	v_add_f16_e32 v8, v28, v8
	v_fma_f16 v28, v45, s4, v118
	v_mul_f16_e32 v128, 0xbbdd, v133
	v_lshrrev_b32_e32 v135, 16, v50
	v_add_f16_e32 v26, v28, v26
	v_fma_f16 v28, v45, s13, v128
	v_mul_f16_e32 v88, 0xb461, v135
	v_add_f16_e32 v27, v28, v27
	v_fma_f16 v28, v49, s26, v88
	v_mul_f16_e32 v111, 0x3b76, v135
	v_add_f16_e32 v1, v28, v1
	v_fma_f16 v28, v49, s27, v111
	v_mul_f16_e32 v121, 0xbacd, v135
	v_add_f16_e32 v8, v28, v8
	v_fma_f16 v28, v49, s20, v121
	v_mul_f16_e32 v130, 0x2de8, v135
	v_lshrrev_b32_e32 v136, 16, v55
	v_add_f16_e32 v26, v28, v26
	v_fma_f16 v28, v49, s24, v130
	v_mul_f16_e32 v91, 0x3722, v136
	v_add_f16_e32 v27, v28, v27
	v_fma_f16 v28, v53, s18, v91
	v_mul_f16_e32 v115, 0x2de8, v136
	v_add_f16_e32 v1, v28, v1
	v_fma_f16 v28, v53, s23, v115
	v_mul_f16_e32 v125, 0xb8d2, v136
	v_add_f16_e32 v8, v28, v8
	v_fma_f16 v28, v53, s28, v125
	v_mul_f16_e32 v132, 0x3b76, v136
	v_lshrrev_b32_e32 v137, 16, v58
	v_add_f16_e32 v29, v28, v26
	v_fma_f16 v26, v53, s27, v132
	v_mul_f16_e32 v101, 0x3b76, v137
	v_add_f16_e32 v27, v26, v27
	v_fma_f16 v26, v57, s21, v101
	v_mul_f16_e32 v117, 0xbacd, v137
	v_add_f16_e32 v26, v26, v1
	;; [unrolled: 3-line block ×3, first 2 shown]
	v_fma_f16 v8, v57, s11, v134
	v_add_f16_e32 v27, v8, v27
	v_pk_mul_f16 v8, v33, s27 op_sel_hi:[1,0]
	v_pk_fma_f16 v93, v34, s19, v8 op_sel:[0,0,1] op_sel_hi:[1,0,0] neg_lo:[0,0,1] neg_hi:[0,0,1]
	v_pk_fma_f16 v94, v34, s19, v8 op_sel:[0,0,1] op_sel_hi:[1,0,0]
	v_pk_mul_f16 v8, v36, s25 op_sel_hi:[1,0]
	v_pk_fma_f16 v95, v37, s6, v8 op_sel:[0,0,1] op_sel_hi:[1,0,0] neg_lo:[0,0,1] neg_hi:[0,0,1]
	v_pk_fma_f16 v96, v37, s6, v8 op_sel:[0,0,1] op_sel_hi:[1,0,0]
	;; [unrolled: 3-line block ×3, first 2 shown]
	v_pk_mul_f16 v8, v41, s23 op_sel_hi:[1,0]
	v_mul_f16_e32 v127, 0x39e9, v137
	v_pk_fma_f16 v100, v44, s10, v8 op_sel:[0,0,1] op_sel_hi:[1,0,0] neg_lo:[0,0,1] neg_hi:[0,0,1]
	v_pk_fma_f16 v103, v44, s10, v8 op_sel:[0,0,1] op_sel_hi:[1,0,0]
	v_pk_mul_f16 v8, v45, s22 op_sel_hi:[1,0]
	v_fma_f16 v1, v57, s17, v127
	v_pk_fma_f16 v104, v47, s15, v8 op_sel:[0,0,1] op_sel_hi:[1,0,0] neg_lo:[0,0,1] neg_hi:[0,0,1]
	v_pk_fma_f16 v106, v47, s15, v8 op_sel:[0,0,1] op_sel_hi:[1,0,0]
	v_pk_mul_f16 v8, v49, s11 op_sel_hi:[1,0]
	v_add_f16_e32 v1, v1, v29
	v_pk_fma_f16 v107, v50, s12, v8 op_sel:[0,0,1] op_sel_hi:[1,0,0] neg_lo:[0,0,1] neg_hi:[0,0,1]
	v_pk_fma_f16 v108, v50, s12, v8 op_sel:[0,0,1] op_sel_hi:[1,0,0]
	v_pk_mul_f16 v8, v53, s20 op_sel_hi:[1,0]
	v_pk_mul_f16 v29, v57, s13 op_sel_hi:[1,0]
	v_pk_fma_f16 v109, v55, s16, v8 op_sel:[0,0,1] op_sel_hi:[1,0,0] neg_lo:[0,0,1] neg_hi:[0,0,1]
	v_pk_fma_f16 v110, v55, s16, v8 op_sel:[0,0,1] op_sel_hi:[1,0,0]
	v_add_f16_e32 v8, v9, v93
	v_pk_fma_f16 v113, v58, s14, v29 op_sel:[0,0,1] op_sel_hi:[1,0,0] neg_lo:[0,0,1] neg_hi:[0,0,1]
	v_pk_fma_f16 v114, v58, s14, v29 op_sel:[0,0,1] op_sel_hi:[1,0,0]
	v_add_f16_sdwa v29, v9, v94 dst_sel:DWORD dst_unused:UNUSED_PAD src0_sel:WORD_1 src1_sel:WORD_1
	v_add_f16_e32 v8, v95, v8
	v_add_f16_sdwa v29, v96, v29 dst_sel:DWORD dst_unused:UNUSED_PAD src0_sel:WORD_1 src1_sel:DWORD
	v_add_f16_e32 v8, v97, v8
	v_add_f16_sdwa v29, v98, v29 dst_sel:DWORD dst_unused:UNUSED_PAD src0_sel:WORD_1 src1_sel:DWORD
	;; [unrolled: 2-line block ×6, first 2 shown]
	s_movk_i32 s4, 0x78
	v_add_f16_sdwa v29, v114, v29 dst_sel:DWORD dst_unused:UNUSED_PAD src0_sel:WORD_1 src1_sel:DWORD
	v_cmp_gt_u32_e32 vcc, s4, v0
	v_add_f16_e32 v8, v113, v8
	s_barrier
	s_and_saveexec_b64 s[4:5], vcc
	s_cbranch_execz .LBB0_13
; %bb.12:
	v_mul_f16_e32 v202, 0xba62, v33
	v_fma_f16 v203, v123, s12, v202
	v_mul_f16_e32 v204, 0x3bb2, v36
	v_add_f16_sdwa v203, v9, v203 dst_sel:DWORD dst_unused:UNUSED_PAD src0_sel:WORD_1 src1_sel:DWORD
	v_fma_f16 v205, v124, s15, v204
	v_add_f16_e32 v203, v205, v203
	v_mul_f16_e32 v205, 0xb5c8, v38
	v_fma_f16 v206, v129, s19, v205
	v_add_f16_e32 v203, v206, v203
	v_mul_f16_e32 v206, 0xb836, v41
	;; [unrolled: 3-line block ×6, first 2 shown]
	v_fma_f16 v211, v137, s7, v210
	v_add_f16_e32 v203, v211, v203
	v_mul_f16_sdwa v211, v33, s11 dst_sel:DWORD dst_unused:UNUSED_PAD src0_sel:WORD_1 src1_sel:DWORD
	v_fma_f16 v212, v34, s12, -v211
	v_mul_f16_sdwa v213, v36, s26 dst_sel:DWORD dst_unused:UNUSED_PAD src0_sel:WORD_1 src1_sel:DWORD
	v_add_f16_e32 v212, v9, v212
	v_fma_f16 v214, v37, s15, -v213
	v_add_f16_e32 v212, v214, v212
	v_mul_f16_sdwa v214, v38, s27 dst_sel:DWORD dst_unused:UNUSED_PAD src0_sel:WORD_1 src1_sel:DWORD
	v_fma_f16 v215, v40, s19, -v214
	v_add_f16_e32 v212, v215, v212
	v_mul_f16_sdwa v215, v41, s20 dst_sel:DWORD dst_unused:UNUSED_PAD src0_sel:WORD_1 src1_sel:DWORD
	;; [unrolled: 3-line block ×6, first 2 shown]
	v_fma_f16 v220, v58, s7, -v219
	v_add_f16_e32 v212, v220, v212
	v_mul_f16_e32 v220, 0xb836, v33
	v_fma_f16 v221, v123, s16, v220
	v_mul_f16_e32 v222, 0x3b29, v36
	v_add_f16_sdwa v221, v9, v221 dst_sel:DWORD dst_unused:UNUSED_PAD src0_sel:WORD_1 src1_sel:DWORD
	v_fma_f16 v223, v124, s7, v222
	v_add_f16_e32 v221, v223, v221
	v_mul_f16_e32 v223, 0xbbf7, v38
	v_fma_f16 v224, v129, s10, v223
	v_add_f16_e32 v221, v224, v221
	v_mul_f16_e32 v224, 0x3a62, v41
	v_mul_f16_e32 v140, 0x3722, v34
	v_fma_f16 v225, v131, s12, v224
	v_mul_f16_e32 v148, 0xb8d2, v37
	v_add_f16_e32 v221, v225, v221
	v_mul_f16_e32 v225, 0xb5c8, v45
	v_add_f16_e32 v43, v140, v43
	v_mul_f16_e32 v156, 0xbbdd, v40
	v_fma_f16 v226, v133, s19, v225
	v_add_f16_e32 v43, v9, v43
	v_add_f16_e32 v48, v148, v48
	v_pk_add_f16 v10, v9, v10
	v_mul_f16_e32 v164, 0xb461, v44
	v_add_f16_e32 v221, v226, v221
	v_mul_f16_e32 v226, 0xb1e1, v49
	v_add_f16_e32 v43, v48, v43
	v_add_f16_e32 v48, v156, v52
	v_pk_add_f16 v10, v10, v13
	v_mul_f16_e32 v172, 0x39e9, v47
	v_fma_f16 v227, v135, s14, v226
	v_add_f16_e32 v43, v48, v43
	v_add_f16_e32 v48, v164, v56
	v_pk_add_f16 v10, v10, v14
	v_mul_f16_e32 v138, 0x39e9, v34
	v_mul_f16_e32 v142, 0x2de8, v34
	v_mul_f16_e32 v180, 0x3b76, v50
	v_add_f16_e32 v221, v227, v221
	v_mul_f16_e32 v227, 0x3964, v53
	v_add_f16_e32 v43, v48, v43
	v_add_f16_e32 v48, v172, v60
	v_pk_add_f16 v10, v10, v17
	v_mul_f16_e32 v144, 0xb461, v34
	v_mul_f16_e32 v146, 0x2de8, v37
	;; [unrolled: 1-line block ×4, first 2 shown]
	v_fma_f16 v228, v136, s6, v227
	v_add_f16_e32 v66, v142, v66
	v_add_f16_e32 v43, v48, v43
	;; [unrolled: 1-line block ×4, first 2 shown]
	v_pk_add_f16 v10, v10, v18
	v_mul_f16_e32 v152, 0xbacd, v37
	v_mul_f16_e32 v154, 0xb8d2, v40
	v_mul_f16_e32 v158, 0xb461, v40
	v_mul_f16_e32 v196, 0xbacd, v58
	v_add_f16_e32 v221, v228, v221
	v_mul_f16_e32 v228, 0xbbb2, v57
	v_add_f16_e32 v77, v144, v77
	v_add_f16_e32 v66, v9, v66
	;; [unrolled: 1-line block ×7, first 2 shown]
	v_pk_add_f16 v10, v10, v21
	v_mul_f16_e32 v139, 0xb964, v33
	v_mul_f16_e32 v160, 0x39e9, v40
	v_mul_f16_e32 v162, 0xbbdd, v44
	v_mul_f16_e32 v166, 0x3b76, v44
	v_fma_f16 v229, v137, s15, v228
	v_fma_f16 v220, v123, s16, -v220
	v_fma_f16 v123, v123, s12, -v202
	v_add_f16_e32 v77, v9, v77
	v_add_f16_e32 v78, v152, v78
	;; [unrolled: 1-line block ×8, first 2 shown]
	v_pk_add_f16 v10, v10, v22
	v_mul_f16_e32 v147, 0xbbf7, v36
	v_mul_f16_e32 v168, 0x3722, v44
	;; [unrolled: 1-line block ×4, first 2 shown]
	v_add_f16_e32 v221, v229, v221
	v_mul_f16_sdwa v229, v33, s20 dst_sel:DWORD dst_unused:UNUSED_PAD src0_sel:WORD_1 src1_sel:DWORD
	v_add_f16_sdwa v220, v9, v220 dst_sel:DWORD dst_unused:UNUSED_PAD src0_sel:WORD_1 src1_sel:DWORD
	v_fma_f16 v222, v124, s7, -v222
	v_add_f16_sdwa v123, v9, v123 dst_sel:DWORD dst_unused:UNUSED_PAD src0_sel:WORD_1 src1_sel:DWORD
	v_fma_f16 v124, v124, s15, -v204
	v_add_f16_e32 v77, v78, v77
	v_add_f16_e32 v78, v160, v80
	;; [unrolled: 1-line block ×5, first 2 shown]
	v_sub_f16_e32 v48, v69, v139
	v_add_f16_e32 v39, v42, v39
	v_add_f16_e32 v42, v162, v51
	v_pk_add_f16 v10, v10, v23
	v_mul_f16_e32 v155, 0xba62, v38
	v_mul_f16_e32 v176, 0xbbdd, v47
	;; [unrolled: 1-line block ×4, first 2 shown]
	v_fma_f16 v230, v34, s16, -v229
	v_mul_f16_sdwa v231, v36, s18 dst_sel:DWORD dst_unused:UNUSED_PAD src0_sel:WORD_1 src1_sel:DWORD
	v_add_f16_e32 v220, v222, v220
	v_fma_f16 v222, v129, s10, -v223
	v_add_f16_e32 v123, v124, v123
	v_fma_f16 v124, v129, s19, -v205
	v_add_f16_e32 v77, v78, v77
	v_add_f16_e32 v78, v168, v81
	;; [unrolled: 1-line block ×4, first 2 shown]
	v_add_f16_sdwa v48, v9, v48 dst_sel:DWORD dst_unused:UNUSED_PAD src0_sel:WORD_1 src1_sel:DWORD
	v_sub_f16_e32 v52, v70, v147
	v_add_f16_e32 v39, v42, v39
	v_add_f16_e32 v42, v170, v54
	v_pk_add_f16 v10, v10, v24
	v_mul_f16_e32 v163, 0xb1e1, v41
	v_mul_f16_e32 v184, 0x2de8, v50
	;; [unrolled: 1-line block ×4, first 2 shown]
	v_add_f16_e32 v230, v9, v230
	v_fma_f16 v232, v37, s7, -v231
	v_add_f16_e32 v220, v222, v220
	v_fma_f16 v222, v131, s12, -v224
	;; [unrolled: 2-line block ×3, first 2 shown]
	v_add_f16_e32 v77, v78, v77
	v_add_f16_e32 v78, v176, v84
	;; [unrolled: 1-line block ×5, first 2 shown]
	v_sub_f16_e32 v52, v75, v155
	v_add_f16_e32 v39, v42, v39
	v_add_f16_e32 v42, v178, v59
	v_pk_add_f16 v10, v10, v19
	v_mul_f16_e32 v171, 0x3836, v45
	v_mul_f16_e32 v192, 0x3b76, v55
	;; [unrolled: 1-line block ×4, first 2 shown]
	v_add_f16_e32 v230, v232, v230
	v_mul_f16_sdwa v232, v38, s23 dst_sel:DWORD dst_unused:UNUSED_PAD src0_sel:WORD_1 src1_sel:DWORD
	v_add_f16_e32 v220, v222, v220
	v_fma_f16 v222, v133, s19, -v225
	v_add_f16_e32 v123, v124, v123
	v_fma_f16 v124, v133, s10, -v207
	v_add_f16_e32 v77, v78, v77
	v_add_f16_e32 v78, v184, v86
	;; [unrolled: 1-line block ×5, first 2 shown]
	v_sub_f16_e32 v52, v79, v163
	v_add_f16_e32 v39, v42, v39
	v_add_f16_e32 v42, v186, v61
	v_pk_add_f16 v10, v10, v20
	v_mul_f16_e32 v141, 0xbb29, v33
	v_mul_f16_e32 v179, 0x3bb2, v49
	;; [unrolled: 1-line block ×3, first 2 shown]
	v_fma_f16 v233, v40, s10, -v232
	v_add_f16_e32 v220, v222, v220
	v_fma_f16 v222, v135, s14, -v226
	v_add_f16_e32 v123, v124, v123
	;; [unrolled: 2-line block ×3, first 2 shown]
	v_add_f16_e32 v78, v192, v87
	v_add_f16_e32 v66, v67, v66
	;; [unrolled: 1-line block ×4, first 2 shown]
	v_sub_f16_e32 v52, v85, v171
	v_add_f16_e32 v39, v42, v39
	v_add_f16_e32 v42, v194, v64
	s_mov_b32 s23, 0xffff
	v_pk_add_f16 v10, v10, v15
	v_mul_f16_e32 v143, 0xbbf7, v33
	v_mul_f16_e32 v145, 0xbbb2, v33
	;; [unrolled: 1-line block ×4, first 2 shown]
	v_add_f16_e32 v230, v233, v230
	v_mul_f16_sdwa v233, v41, s28 dst_sel:DWORD dst_unused:UNUSED_PAD src0_sel:WORD_1 src1_sel:DWORD
	v_add_f16_e32 v220, v222, v220
	v_fma_f16 v222, v136, s6, -v227
	v_add_f16_e32 v123, v124, v123
	v_fma_f16 v124, v136, s14, -v209
	v_add_f16_e32 v77, v78, v77
	v_add_f16_e32 v78, v200, v90
	;; [unrolled: 1-line block ×3, first 2 shown]
	v_sub_f16_e32 v67, v82, v141
	v_add_f16_e32 v48, v52, v48
	v_sub_f16_e32 v52, v88, v179
	v_add_f16_e32 v39, v42, v39
	v_bfi_b32 v42, s23, v94, v93
	v_pk_add_f16 v10, v10, v16
	v_mul_f16_e32 v151, 0xb1e1, v36
	v_mul_f16_e32 v153, 0x3836, v36
	v_mul_f16_e32 v157, 0x31e1, v38
	v_mul_f16_e32 v195, 0x35c8, v57
	v_fma_f16 v234, v44, s12, -v233
	v_add_f16_e32 v220, v222, v220
	v_fma_f16 v222, v137, s15, -v228
	v_add_f16_e32 v123, v124, v123
	v_fma_f16 v124, v137, s7, -v210
	v_sub_f16_e32 v119, v119, v145
	v_add_f16_e32 v77, v78, v77
	v_sub_f16_e32 v78, v99, v143
	v_add_f16_sdwa v67, v9, v67 dst_sel:DWORD dst_unused:UNUSED_PAD src0_sel:WORD_1 src1_sel:DWORD
	v_sub_f16_e32 v68, v83, v149
	v_add_f16_e32 v48, v52, v48
	v_sub_f16_e32 v52, v91, v187
	v_bfi_b32 v46, s23, v96, v95
	v_pk_add_f16 v10, v10, v11
	v_pk_add_f16 v11, v9, v42
	v_mul_f16_e32 v159, 0x3bb2, v38
	v_mul_f16_e32 v161, 0x3964, v38
	;; [unrolled: 1-line block ×3, first 2 shown]
	v_add_f16_e32 v230, v234, v230
	v_mul_f16_sdwa v234, v45, s27 dst_sel:DWORD dst_unused:UNUSED_PAD src0_sel:WORD_1 src1_sel:DWORD
	v_add_f16_e32 v220, v222, v220
	v_fma_f16 v222, v34, s16, v229
	v_add_f16_e32 v123, v124, v123
	v_fma_f16 v124, v34, s12, v211
	v_add_f16_sdwa v119, v9, v119 dst_sel:DWORD dst_unused:UNUSED_PAD src0_sel:WORD_1 src1_sel:DWORD
	v_sub_f16_e32 v120, v120, v153
	v_add_f16_sdwa v78, v9, v78 dst_sel:DWORD dst_unused:UNUSED_PAD src0_sel:WORD_1 src1_sel:DWORD
	v_sub_f16_e32 v80, v102, v151
	v_add_f16_e32 v67, v68, v67
	v_sub_f16_e32 v68, v89, v157
	v_add_f16_e32 v48, v52, v48
	v_sub_f16_e32 v52, v101, v195
	v_bfi_b32 v51, s23, v98, v97
	v_pk_add_f16 v11, v46, v11
	v_mul_f16_e32 v167, 0x35c8, v41
	v_mul_f16_e32 v169, 0xbb29, v41
	;; [unrolled: 1-line block ×3, first 2 shown]
	v_fma_f16 v235, v47, s19, -v234
	v_add_f16_e32 v222, v9, v222
	v_fma_f16 v223, v37, s7, v231
	v_add_f16_e32 v124, v9, v124
	v_fma_f16 v129, v37, s15, v213
	v_add_f16_e32 v119, v120, v119
	v_sub_f16_e32 v120, v122, v161
	v_add_f16_e32 v78, v80, v78
	v_sub_f16_e32 v80, v112, v159
	;; [unrolled: 2-line block ×3, first 2 shown]
	v_add_f16_e32 v48, v52, v48
	v_bfi_b32 v52, s23, v103, v100
	v_pk_add_f16 v11, v51, v11
	v_mul_f16_e32 v175, 0xbb29, v45
	v_mul_f16_e32 v177, 0xb1e1, v45
	v_mul_f16_e32 v181, 0xb5c8, v49
	v_add_f16_e32 v230, v235, v230
	v_mul_f16_sdwa v235, v49, s13 dst_sel:DWORD dst_unused:UNUSED_PAD src0_sel:WORD_1 src1_sel:DWORD
	v_add_f16_e32 v222, v223, v222
	v_fma_f16 v223, v40, s10, v232
	v_add_f16_e32 v124, v129, v124
	v_fma_f16 v129, v40, s19, v214
	v_add_f16_e32 v119, v120, v119
	v_sub_f16_e32 v120, v126, v169
	v_add_f16_e32 v78, v80, v78
	v_sub_f16_e32 v80, v116, v167
	;; [unrolled: 2-line block ×3, first 2 shown]
	v_bfi_b32 v54, s23, v106, v104
	v_pk_add_f16 v11, v52, v11
	v_mul_f16_e32 v183, 0xb836, v49
	v_mul_f16_e32 v185, 0x3bf7, v49
	;; [unrolled: 1-line block ×3, first 2 shown]
	v_fma_f16 v236, v50, s14, -v235
	v_add_f16_e32 v222, v223, v222
	v_fma_f16 v223, v44, s12, v233
	v_add_f16_e32 v124, v129, v124
	v_fma_f16 v129, v44, s16, v215
	v_add_f16_e32 v119, v120, v119
	v_sub_f16_e32 v120, v128, v177
	v_add_f16_e32 v78, v80, v78
	v_sub_f16_e32 v80, v118, v175
	;; [unrolled: 2-line block ×3, first 2 shown]
	v_bfi_b32 v56, s23, v108, v107
	v_pk_add_f16 v11, v54, v11
	v_mul_f16_e32 v191, 0x3a62, v53
	v_mul_f16_e32 v193, 0xb5c8, v53
	;; [unrolled: 1-line block ×3, first 2 shown]
	v_add_f16_e32 v230, v236, v230
	v_mul_f16_sdwa v236, v53, s17 dst_sel:DWORD dst_unused:UNUSED_PAD src0_sel:WORD_1 src1_sel:DWORD
	v_add_f16_e32 v222, v223, v222
	v_fma_f16 v223, v47, s19, v234
	v_add_f16_e32 v124, v129, v124
	v_fma_f16 v129, v47, s10, v216
	v_add_f16_e32 v119, v120, v119
	v_sub_f16_e32 v120, v130, v185
	v_add_f16_e32 v78, v80, v78
	v_sub_f16_e32 v80, v121, v183
	;; [unrolled: 2-line block ×3, first 2 shown]
	v_bfi_b32 v59, s23, v110, v109
	v_pk_add_f16 v11, v56, v11
	v_mul_f16_e32 v199, 0x3964, v57
	v_mul_f16_e32 v201, 0xba62, v57
	v_fma_f16 v237, v55, s6, -v236
	v_add_f16_e32 v222, v223, v222
	v_fma_f16 v223, v50, s14, v235
	v_add_f16_e32 v124, v129, v124
	v_fma_f16 v129, v50, s6, v217
	v_add_f16_e32 v119, v120, v119
	v_sub_f16_e32 v120, v132, v193
	v_add_f16_e32 v78, v80, v78
	v_sub_f16_e32 v80, v125, v191
	;; [unrolled: 2-line block ×3, first 2 shown]
	v_bfi_b32 v60, s23, v114, v113
	v_pk_add_f16 v10, v10, v12
	v_pk_add_f16 v11, v59, v11
	v_add_f16_e32 v230, v237, v230
	v_mul_f16_sdwa v237, v57, s22 dst_sel:DWORD dst_unused:UNUSED_PAD src0_sel:WORD_1 src1_sel:DWORD
	v_add_f16_e32 v222, v223, v222
	v_fma_f16 v223, v55, s6, v236
	v_add_f16_e32 v124, v129, v124
	v_fma_f16 v129, v55, s14, v218
	v_add_f16_e32 v119, v120, v119
	v_sub_f16_e32 v120, v134, v201
	v_add_f16_e32 v78, v80, v78
	v_sub_f16_e32 v80, v127, v199
	v_add_f16_e32 v67, v68, v67
	v_lshl_add_u32 v13, v0, 6, v25
	v_pk_add_f16 v10, v10, v35
	v_pk_add_f16 v11, v60, v11
	v_add_f16_e32 v222, v223, v222
	v_fma_f16 v223, v58, s15, v237
	v_add_f16_e32 v124, v129, v124
	v_fma_f16 v129, v58, s7, v219
	v_add_f16_e32 v119, v120, v119
	v_add_f16_e32 v78, v80, v78
	ds_write2_b32 v13, v10, v11 offset1:1
	v_pack_b32_f16 v10, v43, v67
	v_pack_b32_f16 v11, v39, v48
	v_add_f16_e32 v222, v223, v222
	v_add_f16_e32 v124, v129, v124
	ds_write2_b32 v13, v11, v10 offset0:2 offset1:3
	v_pack_b32_f16 v10, v77, v119
	v_pack_b32_f16 v11, v66, v78
	ds_write2_b32 v13, v11, v10 offset0:4 offset1:5
	v_pack_b32_f16 v10, v222, v220
	v_pack_b32_f16 v11, v124, v123
	ds_write2_b32 v13, v11, v10 offset0:6 offset1:7
	v_pk_mul_f16 v10, v34, s14 op_sel_hi:[1,0]
	v_pk_fma_f16 v11, v33, s13, v10 op_sel:[0,0,1] op_sel_hi:[1,0,0]
	v_alignbit_b32 v12, s0, v9, 16
	v_pk_mul_f16 v14, v37, s19 op_sel_hi:[1,0]
	v_pk_add_f16 v12, v12, v11
	v_pk_fma_f16 v15, v36, s21, v14 op_sel:[0,0,1] op_sel_hi:[1,0,0]
	v_pk_mul_f16 v16, v40, s16 op_sel_hi:[1,0]
	v_pk_fma_f16 v10, v33, s13, v10 op_sel:[0,0,1] op_sel_hi:[1,0,0] neg_lo:[1,0,0] neg_hi:[1,0,0]
	v_alignbit_b32 v11, s0, v11, 16
	v_pk_fma_f16 v17, v38, s20, v16 op_sel:[0,0,1] op_sel_hi:[1,0,0]
	v_pk_mul_f16 v18, v44, s6 op_sel_hi:[1,0]
	v_pk_add_f16 v10, v9, v10 op_sel:[1,0] op_sel_hi:[0,1]
	v_pk_fma_f16 v14, v36, s21, v14 op_sel:[0,0,1] op_sel_hi:[1,0,0] neg_lo:[1,0,0] neg_hi:[1,0,0]
	v_pk_add_f16 v9, v9, v11
	v_alignbit_b32 v11, s0, v15, 16
	v_pk_add_f16 v12, v15, v12
	v_pk_fma_f16 v19, v41, s17, v18 op_sel:[0,0,1] op_sel_hi:[1,0,0]
	v_pk_mul_f16 v20, v47, s12 op_sel_hi:[1,0]
	v_pk_add_f16 v10, v14, v10
	v_pk_fma_f16 v14, v38, s20, v16 op_sel:[0,0,1] op_sel_hi:[1,0,0] neg_lo:[1,0,0] neg_hi:[1,0,0]
	v_pk_add_f16 v9, v11, v9
	v_alignbit_b32 v11, s0, v17, 16
	v_pk_add_f16 v12, v17, v12
	v_pk_fma_f16 v21, v45, s11, v20 op_sel:[0,0,1] op_sel_hi:[1,0,0]
	v_pk_mul_f16 v22, v50, s7 op_sel_hi:[1,0]
	v_pk_add_f16 v10, v14, v10
	;; [unrolled: 7-line block ×4, first 2 shown]
	v_pk_fma_f16 v14, v49, s18, v22 op_sel:[0,0,1] op_sel_hi:[1,0,0] neg_lo:[1,0,0] neg_hi:[1,0,0]
	v_pk_add_f16 v9, v11, v9
	v_alignbit_b32 v11, s0, v23, 16
	v_pk_add_f16 v12, v23, v12
	v_pk_fma_f16 v37, v57, s24, v35 op_sel:[0,0,1] op_sel_hi:[1,0,0]
	v_pk_add_f16 v10, v14, v10
	v_pk_fma_f16 v14, v53, s22, v24 op_sel:[0,0,1] op_sel_hi:[1,0,0] neg_lo:[1,0,0] neg_hi:[1,0,0]
	v_pk_add_f16 v9, v11, v9
	v_alignbit_b32 v11, s0, v34, 16
	v_pk_add_f16 v12, v34, v12
	v_pk_add_f16 v10, v14, v10
	v_pk_fma_f16 v14, v57, s24, v35 op_sel:[0,0,1] op_sel_hi:[1,0,0] neg_lo:[1,0,0] neg_hi:[1,0,0]
	v_pk_add_f16 v9, v11, v9
	v_alignbit_b32 v11, s0, v37, 16
	v_fma_f16 v238, v58, s15, -v237
	v_pk_add_f16 v12, v37, v12
	v_pk_add_f16 v10, v14, v10
	v_pk_add_f16 v9, v11, v9
	v_add_f16_e32 v230, v238, v230
	v_alignbit_b32 v11, v12, v10, 16
	v_pack_b32_f16 v9, v9, v10
	ds_write2_b32 v13, v9, v11 offset0:8 offset1:9
	v_pack_b32_f16 v9, v212, v203
	v_pack_b32_f16 v10, v230, v221
	s_mov_b32 s6, 0x5040100
	ds_write2_b32 v13, v10, v9 offset0:10 offset1:11
	v_perm_b32 v9, v1, v7, s6
	v_perm_b32 v10, v27, v6, s6
	ds_write2_b32 v13, v10, v9 offset0:12 offset1:13
	v_perm_b32 v9, v26, v5, s6
	v_perm_b32 v10, v28, v4, s6
	ds_write2_b32 v13, v10, v9 offset0:14 offset1:15
	v_perm_b32 v9, v29, v8, s6
	ds_write_b32 v13, v9 offset:64
.LBB0_13:
	s_or_b64 exec, exec, s[4:5]
	s_movk_i32 s4, 0xf1
	v_mul_lo_u16_sdwa v9, v0, s4 dst_sel:DWORD dst_unused:UNUSED_PAD src0_sel:BYTE_0 src1_sel:DWORD
	v_lshrrev_b16_e32 v41, 12, v9
	v_mul_lo_u16_e32 v9, 17, v41
	v_add_u32_e32 v24, 0xaa, v0
	v_sub_u16_e32 v42, v0, v9
	v_mov_b32_e32 v43, 3
	s_mov_b32 s4, 0xf0f1
	v_mul_u32_u24_sdwa v9, v42, v43 dst_sel:DWORD dst_unused:UNUSED_PAD src0_sel:BYTE_0 src1_sel:DWORD
	v_mul_u32_u24_sdwa v44, v24, s4 dst_sel:DWORD dst_unused:UNUSED_PAD src0_sel:WORD_0 src1_sel:DWORD
	v_lshlrev_b32_e32 v9, 2, v9
	v_lshrrev_b32_e32 v45, 20, v44
	s_waitcnt lgkmcnt(0)
	s_barrier
	global_load_dwordx3 v[10:12], v9, s[8:9]
	v_mul_lo_u16_e32 v9, 17, v45
	v_add_u32_e32 v23, 0x154, v0
	v_sub_u16_e32 v46, v24, v9
	v_mul_u32_u24_e32 v9, 3, v46
	v_mul_u32_u24_sdwa v47, v23, s4 dst_sel:DWORD dst_unused:UNUSED_PAD src0_sel:WORD_0 src1_sel:DWORD
	v_lshlrev_b32_e32 v9, 2, v9
	v_lshrrev_b32_e32 v48, 20, v47
	global_load_dwordx3 v[13:15], v9, s[8:9]
	v_mul_lo_u16_e32 v9, 17, v48
	v_sub_u16_e32 v49, v23, v9
	v_mul_u32_u24_e32 v9, 3, v49
	v_lshlrev_b32_e32 v9, 2, v9
	global_load_dwordx3 v[16:18], v9, s[8:9]
	ds_read2_b32 v[19:20], v25 offset1:170
	v_add_u32_e32 v50, 0x400, v25
	v_add_u32_e32 v9, 0xf00, v25
	;; [unrolled: 1-line block ×3, first 2 shown]
	ds_read2_b32 v[21:22], v31 offset0:36 offset1:206
	ds_read2_b32 v[33:34], v32 offset0:40 offset1:210
	;; [unrolled: 1-line block ×5, first 2 shown]
	s_waitcnt lgkmcnt(4)
	v_lshrrev_b32_e32 v52, 16, v21
	v_lshrrev_b32_e32 v56, 16, v19
	s_waitcnt lgkmcnt(2)
	v_lshrrev_b32_e32 v58, 16, v36
	s_waitcnt lgkmcnt(1)
	;; [unrolled: 2-line block ×3, first 2 shown]
	v_lshrrev_b32_e32 v60, 16, v40
	v_lshrrev_b32_e32 v53, 16, v34
	;; [unrolled: 1-line block ×6, first 2 shown]
	v_mul_u32_u24_e32 v41, 0x110, v41
	s_waitcnt vmcnt(0)
	s_barrier
	s_movk_i32 s5, 0x79
	v_cmp_gt_u32_e32 vcc, 34, v0
	v_mul_f16_sdwa v62, v10, v58 dst_sel:DWORD dst_unused:UNUSED_PAD src0_sel:WORD_1 src1_sel:DWORD
	v_mul_f16_sdwa v63, v10, v36 dst_sel:DWORD dst_unused:UNUSED_PAD src0_sel:WORD_1 src1_sel:DWORD
	;; [unrolled: 1-line block ×6, first 2 shown]
	v_fma_f16 v36, v10, v36, v62
	v_fma_f16 v10, v10, v58, -v63
	v_fma_f16 v37, v11, v37, v64
	v_fma_f16 v11, v11, v59, -v65
	;; [unrolled: 2-line block ×3, first 2 shown]
	v_mul_f16_sdwa v72, v52, v15 dst_sel:DWORD dst_unused:UNUSED_PAD src0_sel:DWORD src1_sel:WORD_1
	v_mul_f16_sdwa v73, v21, v15 dst_sel:DWORD dst_unused:UNUSED_PAD src0_sel:DWORD src1_sel:WORD_1
	v_sub_f16_e32 v37, v19, v37
	v_sub_f16_e32 v11, v56, v11
	;; [unrolled: 1-line block ×4, first 2 shown]
	v_mul_f16_sdwa v68, v13, v55 dst_sel:DWORD dst_unused:UNUSED_PAD src0_sel:WORD_1 src1_sel:DWORD
	v_mul_f16_sdwa v69, v13, v33 dst_sel:DWORD dst_unused:UNUSED_PAD src0_sel:WORD_1 src1_sel:DWORD
	v_mul_f16_sdwa v70, v14, v61 dst_sel:DWORD dst_unused:UNUSED_PAD src0_sel:WORD_1 src1_sel:DWORD
	v_mul_f16_sdwa v71, v14, v38 dst_sel:DWORD dst_unused:UNUSED_PAD src0_sel:WORD_1 src1_sel:DWORD
	v_mul_f16_sdwa v74, v53, v16 dst_sel:DWORD dst_unused:UNUSED_PAD src0_sel:DWORD src1_sel:WORD_1
	v_mul_f16_sdwa v75, v34, v16 dst_sel:DWORD dst_unused:UNUSED_PAD src0_sel:DWORD src1_sel:WORD_1
	v_fma_f16 v21, v21, v15, v72
	v_fma_f16 v15, v52, v15, -v73
	v_fma_f16 v19, v19, 2.0, -v37
	v_fma_f16 v52, v56, 2.0, -v11
	;; [unrolled: 1-line block ×4, first 2 shown]
	v_fma_f16 v33, v13, v33, v68
	v_fma_f16 v13, v13, v55, -v69
	v_fma_f16 v38, v14, v38, v70
	v_fma_f16 v14, v14, v61, -v71
	;; [unrolled: 2-line block ×3, first 2 shown]
	v_sub_f16_e32 v36, v19, v36
	v_sub_f16_e32 v10, v52, v10
	v_add_f16_e32 v12, v37, v12
	v_sub_f16_e32 v40, v11, v40
	v_lshrrev_b32_e32 v53, 16, v20
	v_mov_b32_e32 v55, 2
	v_fma_f16 v19, v19, 2.0, -v36
	v_fma_f16 v52, v52, 2.0, -v10
	;; [unrolled: 1-line block ×4, first 2 shown]
	v_sub_f16_e32 v38, v20, v38
	v_sub_f16_e32 v14, v53, v14
	;; [unrolled: 1-line block ×4, first 2 shown]
	v_lshlrev_b32_sdwa v42, v55, v42 dst_sel:DWORD dst_unused:UNUSED_PAD src0_sel:DWORD src1_sel:BYTE_0
	v_mul_f16_sdwa v76, v57, v17 dst_sel:DWORD dst_unused:UNUSED_PAD src0_sel:DWORD src1_sel:WORD_1
	v_mul_f16_sdwa v77, v39, v17 dst_sel:DWORD dst_unused:UNUSED_PAD src0_sel:DWORD src1_sel:WORD_1
	;; [unrolled: 1-line block ×4, first 2 shown]
	v_fma_f16 v20, v20, 2.0, -v38
	v_fma_f16 v53, v53, 2.0, -v14
	;; [unrolled: 1-line block ×4, first 2 shown]
	v_add3_u32 v41, 0, v41, v42
	v_pack_b32_f16 v19, v19, v52
	v_pack_b32_f16 v11, v37, v11
	v_fma_f16 v39, v39, v17, v76
	v_fma_f16 v17, v57, v17, -v77
	v_fma_f16 v22, v22, v18, v78
	v_fma_f16 v18, v54, v18, -v79
	v_sub_f16_e32 v33, v20, v33
	v_sub_f16_e32 v13, v53, v13
	v_add_f16_e32 v15, v38, v15
	v_sub_f16_e32 v21, v14, v21
	v_lshrrev_b32_e32 v54, 16, v35
	ds_write2_b32 v41, v19, v11 offset1:17
	v_pack_b32_f16 v10, v36, v10
	v_pack_b32_f16 v11, v12, v40
	v_fma_f16 v20, v20, 2.0, -v33
	v_fma_f16 v53, v53, 2.0, -v13
	;; [unrolled: 1-line block ×4, first 2 shown]
	v_sub_f16_e32 v39, v35, v39
	v_sub_f16_e32 v17, v54, v17
	;; [unrolled: 1-line block ×4, first 2 shown]
	ds_write2_b32 v41, v10, v11 offset0:34 offset1:51
	v_mul_u32_u24_e32 v10, 0x110, v45
	v_lshlrev_b32_e32 v11, 2, v46
	v_fma_f16 v35, v35, 2.0, -v39
	v_fma_f16 v54, v54, 2.0, -v17
	;; [unrolled: 1-line block ×4, first 2 shown]
	v_add3_u32 v10, 0, v10, v11
	v_pack_b32_f16 v11, v20, v53
	v_pack_b32_f16 v12, v38, v14
	v_sub_f16_e32 v34, v35, v34
	v_sub_f16_e32 v16, v54, v16
	v_add_f16_e32 v18, v39, v18
	v_sub_f16_e32 v22, v17, v22
	ds_write2_b32 v10, v11, v12 offset1:17
	v_pack_b32_f16 v11, v33, v13
	v_pack_b32_f16 v12, v15, v21
	v_fma_f16 v35, v35, 2.0, -v34
	v_fma_f16 v54, v54, 2.0, -v16
	;; [unrolled: 1-line block ×4, first 2 shown]
	ds_write2_b32 v10, v11, v12 offset0:34 offset1:51
	v_mul_u32_u24_e32 v10, 0x110, v48
	v_lshlrev_b32_e32 v11, 2, v49
	v_add3_u32 v10, 0, v10, v11
	v_pack_b32_f16 v11, v35, v54
	v_pack_b32_f16 v12, v39, v17
	ds_write2_b32 v10, v11, v12 offset1:17
	v_pack_b32_f16 v11, v34, v16
	v_pack_b32_f16 v12, v18, v22
	ds_write2_b32 v10, v11, v12 offset0:34 offset1:51
	v_mul_lo_u16_sdwa v10, v0, s5 dst_sel:DWORD dst_unused:UNUSED_PAD src0_sel:BYTE_0 src1_sel:DWORD
	v_lshrrev_b16_e32 v37, 13, v10
	v_mul_lo_u16_e32 v10, 0x44, v37
	v_sub_u16_e32 v38, v0, v10
	v_lshlrev_b32_sdwa v10, v43, v38 dst_sel:DWORD dst_unused:UNUSED_PAD src0_sel:DWORD src1_sel:BYTE_0
	s_waitcnt lgkmcnt(0)
	s_barrier
	global_load_dwordx2 v[10:11], v10, s[8:9] offset:204
	v_lshrrev_b32_e32 v39, 22, v44
	v_mul_lo_u16_e32 v12, 0x44, v39
	v_sub_u16_e32 v40, v24, v12
	v_lshlrev_b32_e32 v12, 3, v40
	global_load_dwordx2 v[12:13], v12, s[8:9] offset:204
	v_lshrrev_b32_e32 v41, 22, v47
	v_mul_lo_u16_e32 v14, 0x44, v41
	v_sub_u16_e32 v42, v23, v14
	v_add_u32_e32 v16, 0x1fe, v0
	v_lshlrev_b32_e32 v14, 3, v42
	global_load_dwordx2 v[14:15], v14, s[8:9] offset:204
	v_mul_u32_u24_sdwa v17, v16, s4 dst_sel:DWORD dst_unused:UNUSED_PAD src0_sel:WORD_0 src1_sel:DWORD
	v_lshrrev_b32_e32 v43, 22, v17
	v_mul_lo_u16_e32 v17, 0x44, v43
	v_sub_u16_e32 v44, v16, v17
	v_lshlrev_b32_e32 v16, 3, v44
	global_load_dwordx2 v[16:17], v16, s[8:9] offset:204
	ds_read2_b32 v[18:19], v25 offset1:170
	ds_read2_b32 v[20:21], v32 offset0:40 offset1:210
	ds_read2_b32 v[22:23], v50 offset0:84 offset1:254
	;; [unrolled: 1-line block ×5, first 2 shown]
	s_waitcnt lgkmcnt(4)
	v_lshrrev_b32_e32 v52, 16, v20
	s_mov_b32 s4, 0xbaee
	s_waitcnt lgkmcnt(2)
	v_lshrrev_b32_e32 v48, 16, v31
	v_lshrrev_b32_e32 v51, 16, v32
	s_waitcnt lgkmcnt(0)
	v_lshrrev_b32_e32 v50, 16, v36
	v_lshrrev_b32_e32 v45, 16, v18
	s_movk_i32 s5, 0x3aee
	v_lshrrev_b32_e32 v46, 16, v19
	v_lshrrev_b32_e32 v47, 16, v22
	;; [unrolled: 1-line block ×3, first 2 shown]
	s_waitcnt vmcnt(0)
	s_barrier
	v_mul_f16_sdwa v53, v10, v52 dst_sel:DWORD dst_unused:UNUSED_PAD src0_sel:WORD_1 src1_sel:DWORD
	v_fma_f16 v53, v10, v20, v53
	v_mul_f16_sdwa v20, v10, v20 dst_sel:DWORD dst_unused:UNUSED_PAD src0_sel:WORD_1 src1_sel:DWORD
	v_fma_f16 v10, v10, v52, -v20
	v_lshrrev_b32_e32 v20, 16, v33
	v_mul_f16_sdwa v52, v11, v20 dst_sel:DWORD dst_unused:UNUSED_PAD src0_sel:WORD_1 src1_sel:DWORD
	v_fma_f16 v52, v11, v33, v52
	v_mul_f16_sdwa v33, v11, v33 dst_sel:DWORD dst_unused:UNUSED_PAD src0_sel:WORD_1 src1_sel:DWORD
	v_fma_f16 v11, v11, v20, -v33
	v_lshrrev_b32_e32 v20, 16, v21
	;; [unrolled: 5-line block ×4, first 2 shown]
	v_mul_f16_sdwa v34, v14, v20 dst_sel:DWORD dst_unused:UNUSED_PAD src0_sel:WORD_1 src1_sel:DWORD
	v_fma_f16 v34, v14, v35, v34
	v_mul_f16_sdwa v35, v14, v35 dst_sel:DWORD dst_unused:UNUSED_PAD src0_sel:WORD_1 src1_sel:DWORD
	v_fma_f16 v14, v14, v20, -v35
	v_mul_f16_sdwa v20, v48, v15 dst_sel:DWORD dst_unused:UNUSED_PAD src0_sel:DWORD src1_sel:WORD_1
	v_fma_f16 v20, v31, v15, v20
	v_mul_f16_sdwa v31, v31, v15 dst_sel:DWORD dst_unused:UNUSED_PAD src0_sel:DWORD src1_sel:WORD_1
	v_fma_f16 v15, v48, v15, -v31
	v_mul_f16_sdwa v31, v50, v16 dst_sel:DWORD dst_unused:UNUSED_PAD src0_sel:DWORD src1_sel:WORD_1
	v_mul_f16_sdwa v35, v36, v16 dst_sel:DWORD dst_unused:UNUSED_PAD src0_sel:DWORD src1_sel:WORD_1
	v_fma_f16 v31, v36, v16, v31
	v_fma_f16 v16, v50, v16, -v35
	v_mul_f16_sdwa v35, v51, v17 dst_sel:DWORD dst_unused:UNUSED_PAD src0_sel:DWORD src1_sel:WORD_1
	v_fma_f16 v35, v32, v17, v35
	v_mul_f16_sdwa v32, v32, v17 dst_sel:DWORD dst_unused:UNUSED_PAD src0_sel:DWORD src1_sel:WORD_1
	v_fma_f16 v17, v51, v17, -v32
	v_add_f16_e32 v32, v18, v53
	v_add_f16_e32 v36, v32, v52
	v_add_f16_e32 v32, v53, v52
	v_fma_f16 v18, v32, -0.5, v18
	v_sub_f16_e32 v32, v10, v11
	v_fma_f16 v48, v32, s4, v18
	v_fma_f16 v18, v32, s5, v18
	v_add_f16_e32 v32, v45, v10
	v_add_f16_e32 v10, v10, v11
	v_add_f16_e32 v50, v32, v11
	v_fma_f16 v10, v10, -0.5, v45
	v_sub_f16_e32 v11, v53, v52
	v_fma_f16 v45, v11, s5, v10
	v_fma_f16 v51, v11, s4, v10
	;; [unrolled: 7-line block ×8, first 2 shown]
	v_mul_u32_u24_e32 v16, 0x330, v37
	v_lshlrev_b32_sdwa v17, v55, v38 dst_sel:DWORD dst_unused:UNUSED_PAD src0_sel:DWORD src1_sel:BYTE_0
	v_add3_u32 v16, 0, v16, v17
	v_pack_b32_f16 v17, v36, v50
	v_pack_b32_f16 v34, v48, v45
	ds_write2_b32 v16, v17, v34 offset1:68
	v_pack_b32_f16 v17, v18, v51
	ds_write_b32 v16, v17 offset:544
	v_mul_u32_u24_e32 v16, 0x330, v39
	v_lshlrev_b32_e32 v17, 2, v40
	v_add3_u32 v16, 0, v16, v17
	v_pack_b32_f16 v17, v52, v54
	v_pack_b32_f16 v12, v19, v12
	ds_write2_b32 v16, v17, v12 offset1:68
	v_pack_b32_f16 v12, v53, v13
	ds_write_b32 v16, v12 offset:544
	v_mul_u32_u24_e32 v12, 0x330, v41
	v_lshlrev_b32_e32 v13, 2, v42
	;; [unrolled: 8-line block ×3, first 2 shown]
	v_add3_u32 v12, 0, v12, v13
	v_pack_b32_f16 v13, v20, v23
	v_pack_b32_f16 v14, v10, v31
	ds_write2_b32 v12, v13, v14 offset1:68
	v_pack_b32_f16 v13, v11, v32
	v_add_u32_e32 v35, 0xc00, v25
	v_add_u32_e32 v36, 0x1300, v25
	;; [unrolled: 1-line block ×3, first 2 shown]
	ds_write_b32 v12, v13 offset:544
	s_waitcnt lgkmcnt(0)
	s_barrier
	ds_read2_b32 v[14:15], v25 offset1:204
	ds_read2_b32 v[16:17], v30 offset0:24 offset1:228
	ds_read2_b32 v[18:19], v35 offset0:48 offset1:252
	;; [unrolled: 1-line block ×4, first 2 shown]
                                        ; implicit-def: $vgpr33
                                        ; implicit-def: $vgpr13
                                        ; implicit-def: $vgpr34
                                        ; implicit-def: $vgpr30
	s_and_saveexec_b64 s[4:5], vcc
	s_cbranch_execz .LBB0_15
; %bb.14:
	v_add_u32_e32 v1, 0x200, v25
	ds_read2_b32 v[10:11], v1 offset0:42 offset1:246
	v_add_u32_e32 v1, 0x900, v25
	v_add_u32_e32 v8, 0x1500, v25
	;; [unrolled: 1-line block ×3, first 2 shown]
	ds_read2_b32 v[6:7], v1 offset0:2 offset1:206
	ds_read2_b32 v[4:5], v9 offset0:26 offset1:230
	;; [unrolled: 1-line block ×4, first 2 shown]
	s_waitcnt lgkmcnt(4)
	v_lshrrev_b32_e32 v31, 16, v10
	v_lshrrev_b32_e32 v32, 16, v11
	s_waitcnt lgkmcnt(3)
	v_lshrrev_b32_e32 v27, 16, v6
	v_lshrrev_b32_e32 v1, 16, v7
	s_waitcnt lgkmcnt(2)
	v_lshrrev_b32_e32 v28, 16, v4
	v_lshrrev_b32_e32 v26, 16, v5
	s_waitcnt lgkmcnt(1)
	v_lshrrev_b32_e32 v29, 16, v8
	v_lshrrev_b32_e32 v30, 16, v9
	s_waitcnt lgkmcnt(0)
	v_lshrrev_b32_e32 v34, 16, v12
	v_lshrrev_b32_e32 v33, 16, v13
.LBB0_15:
	s_or_b64 exec, exec, s[4:5]
	v_mul_u32_u24_e32 v38, 9, v0
	v_lshlrev_b32_e32 v46, 2, v38
	global_load_dwordx4 v[38:41], v46, s[8:9] offset:748
	global_load_dwordx4 v[42:45], v46, s[8:9] offset:764
	global_load_dword v47, v46, s[8:9] offset:780
	s_waitcnt lgkmcnt(1)
	v_lshrrev_b32_e32 v51, 16, v20
	v_lshrrev_b32_e32 v53, 16, v18
	s_waitcnt lgkmcnt(0)
	v_lshrrev_b32_e32 v49, 16, v22
	v_lshrrev_b32_e32 v55, 16, v16
	;; [unrolled: 1-line block ×8, first 2 shown]
	s_mov_b32 s6, 0xbb9c
	s_movk_i32 s11, 0x3b9c
	s_mov_b32 s7, 0xb8b4
	s_movk_i32 s12, 0x38b4
	s_movk_i32 s10, 0x34f2
	;; [unrolled: 1-line block ×3, first 2 shown]
	s_mov_b32 s14, 0xb4f2
	s_mov_b32 s15, 0xba79
	s_waitcnt vmcnt(0)
	s_barrier
	v_mul_f16_sdwa v63, v41, v53 dst_sel:DWORD dst_unused:UNUSED_PAD src0_sel:WORD_1 src1_sel:DWORD
	v_mul_f16_sdwa v67, v43, v51 dst_sel:DWORD dst_unused:UNUSED_PAD src0_sel:WORD_1 src1_sel:DWORD
	;; [unrolled: 1-line block ×8, first 2 shown]
	v_fma_f16 v18, v41, v18, v63
	v_fma_f16 v20, v43, v20, v67
	v_mul_f16_sdwa v57, v38, v56 dst_sel:DWORD dst_unused:UNUSED_PAD src0_sel:WORD_1 src1_sel:DWORD
	v_mul_f16_sdwa v58, v38, v15 dst_sel:DWORD dst_unused:UNUSED_PAD src0_sel:WORD_1 src1_sel:DWORD
	;; [unrolled: 1-line block ×8, first 2 shown]
	v_fma_f16 v16, v39, v16, v59
	v_fma_f16 v39, v39, v55, -v60
	v_fma_f16 v22, v45, v22, v71
	v_fma_f16 v45, v45, v49, -v72
	v_add_f16_e32 v49, v18, v20
	v_mul_f16_sdwa v73, v48, v47 dst_sel:DWORD dst_unused:UNUSED_PAD src0_sel:DWORD src1_sel:WORD_1
	v_mul_f16_sdwa v74, v23, v47 dst_sel:DWORD dst_unused:UNUSED_PAD src0_sel:DWORD src1_sel:WORD_1
	v_fma_f16 v15, v38, v15, v57
	v_fma_f16 v38, v38, v56, -v58
	v_fma_f16 v17, v40, v17, v61
	v_fma_f16 v40, v40, v54, -v62
	v_fma_f16 v41, v41, v53, -v64
	v_fma_f16 v19, v42, v19, v65
	v_fma_f16 v42, v42, v52, -v66
	;; [unrolled: 3-line block ×3, first 2 shown]
	v_sub_f16_e32 v50, v39, v45
	v_sub_f16_e32 v52, v16, v18
	;; [unrolled: 1-line block ×3, first 2 shown]
	v_add_f16_e32 v54, v16, v22
	v_sub_f16_e32 v55, v18, v16
	v_sub_f16_e32 v56, v20, v22
	v_add_f16_e32 v57, v46, v39
	v_fma_f16 v49, v49, -0.5, v14
	v_fma_f16 v23, v23, v47, v73
	v_fma_f16 v47, v48, v47, -v74
	v_add_f16_e32 v48, v14, v16
	v_sub_f16_e32 v51, v41, v43
	v_add_f16_e32 v52, v52, v53
	v_fma_f16 v14, v54, -0.5, v14
	v_add_f16_e32 v53, v55, v56
	v_add_f16_e32 v54, v57, v41
	v_fma_f16 v55, v50, s6, v49
	v_fma_f16 v49, v50, s11, v49
	v_add_f16_e32 v58, v41, v43
	v_add_f16_e32 v48, v48, v18
	v_fma_f16 v56, v51, s11, v14
	v_fma_f16 v14, v51, s6, v14
	v_add_f16_e32 v54, v54, v43
	v_fma_f16 v55, v51, s7, v55
	v_fma_f16 v49, v51, s12, v49
	;; [unrolled: 3-line block ×4, first 2 shown]
	v_fma_f16 v52, v58, -0.5, v46
	v_sub_f16_e32 v16, v16, v22
	v_add_f16_e32 v48, v48, v22
	v_fma_f16 v22, v16, s11, v52
	v_sub_f16_e32 v18, v18, v20
	v_fma_f16 v51, v53, s10, v51
	v_fma_f16 v14, v53, s10, v14
	;; [unrolled: 1-line block ×3, first 2 shown]
	v_sub_f16_e32 v22, v39, v41
	v_sub_f16_e32 v53, v45, v43
	v_fma_f16 v52, v16, s6, v52
	v_add_f16_e32 v22, v22, v53
	v_fma_f16 v52, v18, s7, v52
	v_fma_f16 v20, v22, s10, v20
	;; [unrolled: 1-line block ×3, first 2 shown]
	v_add_f16_e32 v52, v39, v45
	v_fma_f16 v46, v52, -0.5, v46
	v_fma_f16 v52, v18, s6, v46
	v_sub_f16_e32 v39, v41, v39
	v_sub_f16_e32 v41, v43, v45
	v_fma_f16 v18, v18, s11, v46
	v_fma_f16 v52, v16, s12, v52
	v_add_f16_e32 v39, v39, v41
	v_fma_f16 v16, v16, s7, v18
	v_fma_f16 v41, v39, s10, v52
	;; [unrolled: 1-line block ×3, first 2 shown]
	v_add_f16_e32 v39, v19, v21
	v_fma_f16 v39, v39, -0.5, v15
	v_sub_f16_e32 v43, v40, v47
	v_fma_f16 v45, v43, s6, v39
	v_sub_f16_e32 v46, v42, v44
	v_sub_f16_e32 v52, v17, v19
	v_sub_f16_e32 v53, v23, v21
	v_fma_f16 v39, v43, s11, v39
	v_fma_f16 v45, v46, s7, v45
	v_add_f16_e32 v52, v52, v53
	v_fma_f16 v39, v46, s12, v39
	v_fma_f16 v45, v52, s10, v45
	;; [unrolled: 1-line block ×3, first 2 shown]
	v_add_f16_e32 v52, v17, v23
	v_add_f16_e32 v18, v15, v17
	v_fma_f16 v15, v52, -0.5, v15
	v_add_f16_e32 v18, v18, v19
	v_fma_f16 v52, v46, s11, v15
	v_fma_f16 v15, v46, s6, v15
	v_add_f16_e32 v46, v42, v44
	v_add_f16_e32 v18, v18, v21
	v_sub_f16_e32 v53, v19, v17
	v_sub_f16_e32 v55, v21, v23
	v_fma_f16 v46, v46, -0.5, v38
	v_sub_f16_e32 v17, v17, v23
	v_add_f16_e32 v18, v18, v23
	v_fma_f16 v52, v43, s7, v52
	v_add_f16_e32 v53, v53, v55
	v_fma_f16 v15, v43, s12, v15
	v_fma_f16 v23, v17, s11, v46
	v_sub_f16_e32 v19, v19, v21
	v_fma_f16 v52, v53, s10, v52
	v_fma_f16 v15, v53, s10, v15
	;; [unrolled: 1-line block ×3, first 2 shown]
	v_sub_f16_e32 v23, v40, v42
	v_sub_f16_e32 v53, v47, v44
	v_fma_f16 v46, v17, s6, v46
	v_add_f16_e32 v23, v23, v53
	v_fma_f16 v46, v19, s7, v46
	v_fma_f16 v21, v23, s10, v21
	;; [unrolled: 1-line block ×3, first 2 shown]
	v_add_f16_e32 v46, v40, v47
	v_add_f16_e32 v43, v38, v40
	v_fma_f16 v38, v46, -0.5, v38
	v_add_f16_e32 v43, v43, v42
	v_fma_f16 v46, v19, s6, v38
	v_sub_f16_e32 v40, v42, v40
	v_sub_f16_e32 v42, v44, v47
	v_fma_f16 v19, v19, s11, v38
	v_fma_f16 v46, v17, s12, v46
	v_add_f16_e32 v40, v40, v42
	v_fma_f16 v17, v17, s7, v19
	v_add_f16_e32 v43, v43, v44
	v_fma_f16 v42, v40, s10, v46
	v_fma_f16 v17, v40, s10, v17
	v_mul_f16_e32 v38, 0xb8b4, v21
	v_mul_f16_e32 v21, 0x3a79, v21
	v_add_f16_e32 v43, v43, v47
	v_fma_f16 v38, v45, s13, v38
	v_mul_f16_e32 v44, 0xbb9c, v42
	v_mul_f16_e32 v47, 0xbb9c, v17
	;; [unrolled: 1-line block ×3, first 2 shown]
	v_fma_f16 v21, v45, s12, v21
	v_mul_f16_e32 v42, 0x34f2, v42
	v_mul_f16_e32 v17, 0xb4f2, v17
	;; [unrolled: 1-line block ×3, first 2 shown]
	v_add_f16_e32 v19, v48, v18
	v_add_f16_e32 v40, v54, v38
	v_fma_f16 v44, v52, s10, v44
	v_fma_f16 v47, v15, s14, v47
	v_add_f16_e32 v57, v50, v43
	v_add_f16_e32 v45, v20, v21
	v_fma_f16 v42, v52, s11, v42
	v_fma_f16 v15, v15, s11, v17
	;; [unrolled: 1-line block ×3, first 2 shown]
	v_add_f16_e32 v46, v51, v44
	v_add_f16_e32 v53, v14, v47
	v_fma_f16 v55, v39, s15, v55
	v_add_f16_e32 v52, v41, v42
	v_add_f16_e32 v17, v16, v15
	;; [unrolled: 1-line block ×3, first 2 shown]
	v_sub_f16_e32 v15, v16, v15
	v_sub_f16_e32 v16, v22, v23
	v_pack_b32_f16 v19, v19, v57
	v_pack_b32_f16 v22, v40, v45
	v_add_f16_e32 v56, v49, v55
	v_sub_f16_e32 v18, v48, v18
	v_sub_f16_e32 v43, v50, v43
	ds_write2_b32 v25, v19, v22 offset1:204
	v_pack_b32_f16 v19, v46, v52
	v_pack_b32_f16 v17, v53, v17
	v_add_u32_e32 v22, 0x600, v25
	v_sub_f16_e32 v38, v54, v38
	v_sub_f16_e32 v44, v51, v44
	;; [unrolled: 1-line block ×6, first 2 shown]
	ds_write2_b32 v22, v19, v17 offset0:24 offset1:228
	v_pack_b32_f16 v17, v56, v39
	v_pack_b32_f16 v18, v18, v43
	ds_write2_b32 v35, v17, v18 offset0:48 offset1:252
	v_pack_b32_f16 v17, v38, v20
	v_pack_b32_f16 v18, v44, v21
	;; [unrolled: 1-line block ×4, first 2 shown]
	ds_write2_b32 v36, v17, v18 offset0:8 offset1:212
	ds_write2_b32 v37, v14, v15 offset0:32 offset1:236
	s_and_saveexec_b64 s[4:5], vcc
	s_cbranch_execz .LBB0_17
; %bb.16:
	v_subrev_u32_e32 v14, 34, v0
	v_cndmask_b32_e32 v14, v14, v24, vcc
	v_mul_i32_i24_e32 v14, 9, v14
	v_mov_b32_e32 v15, 0
	v_lshlrev_b64 v[14:15], 2, v[14:15]
	v_mov_b32_e32 v16, s9
	v_add_co_u32_e32 v22, vcc, s8, v14
	v_addc_co_u32_e32 v23, vcc, v16, v15, vcc
	global_load_dwordx4 v[14:17], v[22:23], off offset:748
	global_load_dwordx4 v[18:21], v[22:23], off offset:764
	global_load_dword v24, v[22:23], off offset:780
	s_waitcnt vmcnt(2)
	v_mul_f16_sdwa v22, v6, v15 dst_sel:DWORD dst_unused:UNUSED_PAD src0_sel:DWORD src1_sel:WORD_1
	v_mul_f16_sdwa v23, v4, v17 dst_sel:DWORD dst_unused:UNUSED_PAD src0_sel:DWORD src1_sel:WORD_1
	s_waitcnt vmcnt(1)
	v_mul_f16_sdwa v35, v12, v21 dst_sel:DWORD dst_unused:UNUSED_PAD src0_sel:DWORD src1_sel:WORD_1
	v_mul_f16_sdwa v36, v8, v19 dst_sel:DWORD dst_unused:UNUSED_PAD src0_sel:DWORD src1_sel:WORD_1
	;; [unrolled: 1-line block ×8, first 2 shown]
	s_waitcnt vmcnt(0)
	v_mul_f16_sdwa v43, v33, v24 dst_sel:DWORD dst_unused:UNUSED_PAD src0_sel:DWORD src1_sel:WORD_1
	v_mul_f16_sdwa v44, v30, v20 dst_sel:DWORD dst_unused:UNUSED_PAD src0_sel:DWORD src1_sel:WORD_1
	;; [unrolled: 1-line block ×6, first 2 shown]
	v_fma_f16 v22, v27, v15, -v22
	v_fma_f16 v23, v28, v17, -v23
	;; [unrolled: 1-line block ×4, first 2 shown]
	v_fma_f16 v6, v6, v15, v37
	v_fma_f16 v12, v12, v21, v38
	v_fma_f16 v4, v4, v17, v39
	v_fma_f16 v8, v8, v19, v40
	v_fma_f16 v7, v7, v16, v41
	v_fma_f16 v5, v5, v18, v42
	v_fma_f16 v13, v13, v24, v43
	v_fma_f16 v9, v9, v20, v44
	v_fma_f16 v1, v1, v16, -v46
	v_fma_f16 v15, v33, v24, -v47
	;; [unrolled: 1-line block ×4, first 2 shown]
	v_sub_f16_e32 v18, v22, v23
	v_sub_f16_e32 v19, v27, v28
	v_add_f16_e32 v20, v23, v28
	v_mul_f16_sdwa v45, v32, v14 dst_sel:DWORD dst_unused:UNUSED_PAD src0_sel:DWORD src1_sel:WORD_1
	v_sub_f16_e32 v21, v6, v12
	v_sub_f16_e32 v26, v7, v5
	;; [unrolled: 1-line block ×7, first 2 shown]
	v_add_f16_e32 v18, v18, v19
	v_fma_f16 v19, v20, -0.5, v31
	v_mul_f16_sdwa v50, v11, v14 dst_sel:DWORD dst_unused:UNUSED_PAD src0_sel:DWORD src1_sel:WORD_1
	v_fma_f16 v11, v11, v14, v45
	v_sub_f16_e32 v24, v4, v8
	v_add_f16_e32 v30, v5, v9
	v_add_f16_e32 v20, v26, v29
	;; [unrolled: 1-line block ×4, first 2 shown]
	v_fma_f16 v40, v21, s6, v19
	v_fma_f16 v19, v21, s11, v19
	v_fma_f16 v14, v32, v14, -v50
	v_sub_f16_e32 v32, v1, v15
	v_add_f16_e32 v41, v22, v27
	v_fma_f16 v26, v30, -0.5, v11
	v_fma_f16 v40, v24, s7, v40
	v_sub_f16_e32 v47, v16, v1
	v_sub_f16_e32 v48, v17, v15
	v_fma_f16 v19, v24, s12, v19
	v_sub_f16_e32 v33, v16, v17
	v_add_f16_e32 v36, v16, v17
	v_fma_f16 v35, v41, -0.5, v31
	v_fma_f16 v41, v32, s11, v26
	v_fma_f16 v40, v18, s10, v40
	v_add_f16_e32 v47, v47, v48
	v_add_f16_e32 v48, v1, v15
	v_fma_f16 v18, v18, s10, v19
	v_fma_f16 v19, v32, s6, v26
	v_add_f16_e32 v1, v14, v1
	v_sub_f16_e32 v37, v7, v13
	v_sub_f16_e32 v42, v5, v7
	;; [unrolled: 1-line block ×3, first 2 shown]
	v_fma_f16 v30, v36, -0.5, v14
	v_fma_f16 v41, v33, s12, v41
	v_fma_f16 v19, v33, s7, v19
	v_add_f16_e32 v1, v1, v16
	v_sub_f16_e32 v38, v5, v9
	v_add_f16_e32 v44, v7, v13
	v_add_f16_e32 v36, v42, v43
	v_fma_f16 v42, v37, s6, v30
	v_fma_f16 v43, v24, s11, v35
	;; [unrolled: 1-line block ×6, first 2 shown]
	v_add_f16_e32 v1, v1, v17
	v_fma_f16 v39, v44, -0.5, v11
	v_fma_f16 v42, v38, s7, v42
	v_fma_f16 v43, v21, s7, v43
	;; [unrolled: 1-line block ×4, first 2 shown]
	v_add_f16_e32 v1, v1, v15
	v_sub_f16_e32 v15, v6, v4
	v_sub_f16_e32 v16, v12, v8
	v_fma_f16 v44, v33, s6, v39
	v_fma_f16 v42, v29, s10, v42
	;; [unrolled: 1-line block ×6, first 2 shown]
	v_add_f16_e32 v15, v15, v16
	v_add_f16_e32 v16, v4, v8
	v_sub_f16_e32 v29, v4, v6
	v_sub_f16_e32 v30, v8, v12
	v_fma_f16 v44, v32, s12, v44
	v_fma_f16 v48, v48, -0.5, v14
	v_fma_f16 v35, v32, s7, v35
	v_add_f16_e32 v26, v31, v22
	v_fma_f16 v16, v16, -0.5, v10
	v_sub_f16_e32 v17, v22, v27
	v_add_f16_e32 v29, v29, v30
	v_add_f16_e32 v30, v6, v12
	;; [unrolled: 1-line block ×3, first 2 shown]
	v_fma_f16 v44, v36, s10, v44
	v_fma_f16 v49, v38, s11, v48
	;; [unrolled: 1-line block ×4, first 2 shown]
	v_add_f16_e32 v26, v26, v23
	v_fma_f16 v22, v17, s11, v16
	v_sub_f16_e32 v23, v23, v28
	v_fma_f16 v30, v30, -0.5, v10
	v_fma_f16 v16, v17, s6, v16
	v_add_f16_e32 v4, v6, v4
	v_add_f16_e32 v6, v11, v7
	v_fma_f16 v49, v37, s7, v49
	v_fma_f16 v36, v37, s12, v36
	;; [unrolled: 1-line block ×6, first 2 shown]
	v_add_f16_e32 v5, v6, v5
	v_fma_f16 v49, v47, s10, v49
	v_fma_f16 v36, v47, s10, v36
	v_mul_f16_e32 v21, 0x3a79, v20
	v_add_f16_e32 v26, v26, v28
	v_fma_f16 v22, v15, s10, v22
	v_fma_f16 v31, v17, s12, v31
	;; [unrolled: 1-line block ×4, first 2 shown]
	v_mul_f16_e32 v16, 0xb8b4, v20
	v_add_f16_e32 v4, v4, v8
	v_add_f16_e32 v5, v5, v9
	v_mul_f16_e32 v50, 0xb4f2, v49
	v_mul_f16_e32 v39, 0x34f2, v36
	v_fma_f16 v21, v19, s12, v21
	v_add_f16_e32 v26, v26, v27
	v_fma_f16 v31, v29, s10, v31
	v_mul_f16_e32 v32, 0xbb9c, v49
	v_fma_f16 v29, v29, s10, v30
	v_mul_f16_e32 v30, 0xbb9c, v36
	v_fma_f16 v16, v19, s13, v16
	v_add_f16_e32 v4, v4, v12
	v_add_f16_e32 v5, v5, v13
	v_mul_f16_e32 v45, 0xba79, v42
	v_fma_f16 v50, v44, s11, v50
	v_fma_f16 v39, v35, s11, v39
	v_sub_f16_e32 v14, v26, v1
	v_mul_f16_e32 v27, 0xb8b4, v42
	v_fma_f16 v32, v44, s14, v32
	v_fma_f16 v30, v35, s10, v30
	v_sub_f16_e32 v17, v15, v16
	v_sub_f16_e32 v6, v4, v5
	v_add_f16_e32 v10, v18, v21
	v_add_f16_e32 v1, v26, v1
	;; [unrolled: 1-line block ×4, first 2 shown]
	v_fma_f16 v45, v41, s12, v45
	v_fma_f16 v27, v41, s15, v27
	v_add_f16_e32 v8, v43, v50
	v_add_f16_e32 v9, v34, v39
	;; [unrolled: 1-line block ×4, first 2 shown]
	v_pack_b32_f16 v1, v4, v1
	v_pack_b32_f16 v4, v15, v10
	v_add_u32_e32 v5, 0x200, v25
	v_add_f16_e32 v7, v40, v45
	v_add_f16_e32 v11, v22, v27
	ds_write2_b32 v5, v1, v4 offset0:42 offset1:246
	v_pack_b32_f16 v1, v13, v9
	v_pack_b32_f16 v4, v12, v8
	v_add_u32_e32 v5, 0x900, v25
	v_sub_f16_e32 v47, v34, v39
	v_sub_f16_e32 v24, v18, v21
	;; [unrolled: 1-line block ×3, first 2 shown]
	ds_write2_b32 v5, v1, v4 offset0:2 offset1:206
	v_pack_b32_f16 v1, v11, v7
	v_pack_b32_f16 v4, v6, v14
	v_add_u32_e32 v5, 0xf00, v25
	v_sub_f16_e32 v46, v40, v45
	v_sub_f16_e32 v51, v43, v50
	;; [unrolled: 1-line block ×4, first 2 shown]
	ds_write2_b32 v5, v1, v4 offset0:26 offset1:230
	v_pack_b32_f16 v1, v17, v24
	v_pack_b32_f16 v4, v35, v47
	v_add_u32_e32 v5, 0x1500, v25
	ds_write2_b32 v5, v1, v4 offset0:50 offset1:254
	v_pack_b32_f16 v1, v33, v51
	v_pack_b32_f16 v4, v28, v46
	v_add_u32_e32 v5, 0x1c00, v25
	ds_write2_b32 v5, v1, v4 offset0:10 offset1:214
.LBB0_17:
	s_or_b64 exec, exec, s[4:5]
	s_waitcnt lgkmcnt(0)
	s_barrier
	ds_read_b32 v10, v25
	s_add_u32 s6, s8, 0x1f9c
	v_lshlrev_b32_e32 v1, 2, v0
	s_addc_u32 s7, s9, 0
	v_sub_u32_e32 v6, 0, v1
	v_cmp_ne_u32_e32 vcc, 0, v0
                                        ; implicit-def: $vgpr9
                                        ; implicit-def: $vgpr7
                                        ; implicit-def: $vgpr8
                                        ; implicit-def: $vgpr4_vgpr5
	s_and_saveexec_b64 s[4:5], vcc
	s_xor_b64 s[4:5], exec, s[4:5]
	s_cbranch_execz .LBB0_19
; %bb.18:
	v_mov_b32_e32 v1, 0
	v_lshlrev_b64 v[4:5], 2, v[0:1]
	v_mov_b32_e32 v7, s7
	v_add_co_u32_e32 v4, vcc, s6, v4
	v_addc_co_u32_e32 v5, vcc, v7, v5, vcc
	global_load_dword v4, v[4:5], off
	ds_read_b32 v5, v6 offset:8160
	s_mov_b32 s8, 0xffff
	s_waitcnt lgkmcnt(0)
	v_pk_add_f16 v7, v10, v5 neg_lo:[0,1] neg_hi:[0,1]
	v_pk_add_f16 v5, v5, v10
	v_bfi_b32 v8, s8, v7, v5
	v_bfi_b32 v5, s8, v5, v7
	v_pk_mul_f16 v7, v8, 0.5 op_sel_hi:[1,0]
	v_pk_mul_f16 v8, v5, 0.5 op_sel_hi:[1,0]
                                        ; implicit-def: $vgpr10
	s_waitcnt vmcnt(0)
	v_pk_mul_f16 v9, v4, v7 op_sel:[1,0]
	v_pk_mul_f16 v4, v4, v7 op_sel_hi:[0,1]
	v_pk_fma_f16 v5, v5, 0.5, v9 op_sel_hi:[1,0,1]
	v_sub_f16_e32 v7, v8, v9
	v_sub_f16_sdwa v8, v9, v8 dst_sel:DWORD dst_unused:UNUSED_PAD src0_sel:WORD_1 src1_sel:WORD_1
	v_pk_add_f16 v9, v5, v4 op_sel:[0,1] op_sel_hi:[1,0]
	v_pk_add_f16 v5, v5, v4 op_sel:[0,1] op_sel_hi:[1,0] neg_lo:[0,1] neg_hi:[0,1]
	v_sub_f16_sdwa v7, v7, v4 dst_sel:DWORD dst_unused:UNUSED_PAD src0_sel:DWORD src1_sel:WORD_1
	v_sub_f16_e32 v8, v8, v4
	v_bfi_b32 v9, s8, v9, v5
	v_mov_b32_e32 v5, v1
	v_mov_b32_e32 v4, v0
.LBB0_19:
	s_andn2_saveexec_b64 s[4:5], s[4:5]
	s_cbranch_execz .LBB0_21
; %bb.20:
	v_mov_b32_e32 v8, 0
	ds_read_u16 v1, v8 offset:4082
	s_waitcnt lgkmcnt(1)
	v_alignbit_b32 v9, s0, v10, 16
	v_mov_b32_e32 v4, 0
	v_pk_add_f16 v9, v9, v10
	v_sub_f16_sdwa v7, v10, v10 dst_sel:DWORD dst_unused:UNUSED_PAD src0_sel:DWORD src1_sel:WORD_1
	v_mov_b32_e32 v5, 0
	s_waitcnt lgkmcnt(0)
	v_xor_b32_e32 v1, 0x8000, v1
	v_pack_b32_f16 v9, v9, 0
	ds_write_b16 v8, v1 offset:4082
.LBB0_21:
	s_or_b64 exec, exec, s[4:5]
	v_lshlrev_b64 v[4:5], 2, v[4:5]
	v_mov_b32_e32 v1, s7
	s_waitcnt lgkmcnt(0)
	v_add_co_u32_e32 v10, vcc, s6, v4
	v_addc_co_u32_e32 v11, vcc, v1, v5, vcc
	global_load_dword v1, v[10:11], off offset:680
	global_load_dword v12, v[10:11], off offset:1360
	;; [unrolled: 1-line block ×3, first 2 shown]
	ds_write_b16 v6, v8 offset:8162
	ds_write_b32 v25, v9
	ds_write_b16 v6, v7 offset:8160
	ds_read_b32 v7, v25 offset:680
	ds_read_b32 v8, v6 offset:7480
	global_load_dword v9, v[10:11], off offset:2720
	global_load_dword v14, v[10:11], off offset:3400
	s_mov_b32 s4, 0xffff
	s_waitcnt lgkmcnt(0)
	v_pk_add_f16 v10, v7, v8 neg_lo:[0,1] neg_hi:[0,1]
	v_pk_add_f16 v7, v7, v8
	v_bfi_b32 v8, s4, v10, v7
	v_bfi_b32 v7, s4, v7, v10
	v_pk_mul_f16 v8, v8, 0.5 op_sel_hi:[1,0]
	v_pk_mul_f16 v10, v7, 0.5 op_sel_hi:[1,0]
	s_waitcnt vmcnt(4)
	v_pk_mul_f16 v11, v1, v8 op_sel:[1,0]
	v_pk_mul_f16 v1, v1, v8 op_sel_hi:[0,1]
	v_pk_fma_f16 v7, v7, 0.5, v11 op_sel_hi:[1,0,1]
	v_sub_f16_e32 v8, v10, v11
	v_sub_f16_sdwa v10, v11, v10 dst_sel:DWORD dst_unused:UNUSED_PAD src0_sel:WORD_1 src1_sel:WORD_1
	v_pk_add_f16 v11, v7, v1 op_sel:[0,1] op_sel_hi:[1,0]
	v_pk_add_f16 v7, v7, v1 op_sel:[0,1] op_sel_hi:[1,0] neg_lo:[0,1] neg_hi:[0,1]
	v_sub_f16_sdwa v8, v8, v1 dst_sel:DWORD dst_unused:UNUSED_PAD src0_sel:DWORD src1_sel:WORD_1
	v_sub_f16_e32 v1, v10, v1
	v_bfi_b32 v7, s4, v11, v7
	ds_write_b16 v6, v1 offset:7482
	ds_write_b32 v25, v7 offset:680
	ds_write_b16 v6, v8 offset:7480
	ds_read_b32 v1, v25 offset:1360
	ds_read_b32 v7, v6 offset:6800
	s_waitcnt lgkmcnt(0)
	v_pk_add_f16 v8, v1, v7 neg_lo:[0,1] neg_hi:[0,1]
	v_pk_add_f16 v1, v1, v7
	v_bfi_b32 v7, s4, v8, v1
	v_bfi_b32 v1, s4, v1, v8
	v_pk_mul_f16 v7, v7, 0.5 op_sel_hi:[1,0]
	v_pk_mul_f16 v8, v1, 0.5 op_sel_hi:[1,0]
	s_waitcnt vmcnt(3)
	v_pk_mul_f16 v10, v12, v7 op_sel:[1,0]
	v_pk_mul_f16 v7, v12, v7 op_sel_hi:[0,1]
	v_pk_fma_f16 v1, v1, 0.5, v10 op_sel_hi:[1,0,1]
	v_sub_f16_e32 v11, v8, v10
	v_sub_f16_sdwa v8, v10, v8 dst_sel:DWORD dst_unused:UNUSED_PAD src0_sel:WORD_1 src1_sel:WORD_1
	v_pk_add_f16 v10, v1, v7 op_sel:[0,1] op_sel_hi:[1,0]
	v_pk_add_f16 v1, v1, v7 op_sel:[0,1] op_sel_hi:[1,0] neg_lo:[0,1] neg_hi:[0,1]
	v_sub_f16_sdwa v11, v11, v7 dst_sel:DWORD dst_unused:UNUSED_PAD src0_sel:DWORD src1_sel:WORD_1
	v_sub_f16_e32 v7, v8, v7
	v_bfi_b32 v1, s4, v10, v1
	ds_write_b16 v6, v7 offset:6802
	ds_write_b32 v25, v1 offset:1360
	ds_write_b16 v6, v11 offset:6800
	ds_read_b32 v1, v25 offset:2040
	ds_read_b32 v7, v6 offset:6120
	;; [unrolled: 23-line block ×4, first 2 shown]
	s_waitcnt lgkmcnt(0)
	v_pk_add_f16 v8, v1, v7 neg_lo:[0,1] neg_hi:[0,1]
	v_pk_add_f16 v1, v1, v7
	v_bfi_b32 v7, s4, v8, v1
	v_bfi_b32 v1, s4, v1, v8
	v_pk_mul_f16 v7, v7, 0.5 op_sel_hi:[1,0]
	v_pk_mul_f16 v1, v1, 0.5 op_sel_hi:[1,0]
	s_waitcnt vmcnt(0)
	v_pk_fma_f16 v8, v14, v7, v1 op_sel:[1,0,0]
	v_pk_mul_f16 v9, v14, v7 op_sel_hi:[0,1]
	v_pk_fma_f16 v10, v14, v7, v1 op_sel:[1,0,0] neg_lo:[1,0,0] neg_hi:[1,0,0]
	v_pk_fma_f16 v1, v14, v7, v1 op_sel:[1,0,0] neg_lo:[0,0,1] neg_hi:[0,0,1]
	v_pk_add_f16 v7, v8, v9 op_sel:[0,1] op_sel_hi:[1,0]
	v_pk_add_f16 v8, v8, v9 op_sel:[0,1] op_sel_hi:[1,0] neg_lo:[0,1] neg_hi:[0,1]
	v_pk_add_f16 v10, v10, v9 op_sel:[0,1] op_sel_hi:[1,0] neg_lo:[0,1] neg_hi:[0,1]
	;; [unrolled: 1-line block ×3, first 2 shown]
	v_bfi_b32 v7, s4, v7, v8
	v_bfi_b32 v1, s4, v10, v1
	ds_write_b32 v25, v7 offset:3400
	ds_write_b32 v6, v1 offset:4760
	s_waitcnt lgkmcnt(0)
	s_barrier
	s_and_saveexec_b64 s[4:5], s[0:1]
	s_cbranch_execz .LBB0_24
; %bb.22:
	ds_read2_b32 v[6:7], v25 offset1:170
	v_mov_b32_e32 v1, s3
	v_add_co_u32_e32 v2, vcc, s2, v2
	v_addc_co_u32_e32 v1, vcc, v1, v3, vcc
	v_add_co_u32_e32 v3, vcc, v2, v4
	v_addc_co_u32_e32 v4, vcc, v1, v5, vcc
	s_waitcnt lgkmcnt(0)
	global_store_dword v[3:4], v6, off
	global_store_dword v[3:4], v7, off offset:680
	v_add_u32_e32 v5, 0x400, v25
	ds_read2_b32 v[5:6], v5 offset0:84 offset1:254
	v_add_u32_e32 v7, 0xa00, v25
	ds_read2_b32 v[7:8], v7 offset0:40 offset1:210
	;; [unrolled: 2-line block ×3, first 2 shown]
	s_waitcnt lgkmcnt(2)
	global_store_dword v[3:4], v5, off offset:1360
	global_store_dword v[3:4], v6, off offset:2040
	s_waitcnt lgkmcnt(1)
	global_store_dword v[3:4], v7, off offset:2720
	global_store_dword v[3:4], v8, off offset:3400
	s_waitcnt lgkmcnt(0)
	global_store_dword v[3:4], v9, off offset:4080
	v_add_u32_e32 v5, 0x1400, v25
	s_movk_i32 s0, 0x1000
	ds_read2_b32 v[5:6], v5 offset0:80 offset1:250
	v_add_u32_e32 v7, 0x1a00, v25
	v_add_co_u32_e32 v3, vcc, s0, v3
	ds_read2_b32 v[7:8], v7 offset0:36 offset1:206
	v_addc_co_u32_e32 v4, vcc, 0, v4, vcc
	s_movk_i32 s0, 0xa9
	v_cmp_eq_u32_e32 vcc, s0, v0
	global_store_dword v[3:4], v10, off offset:664
	s_waitcnt lgkmcnt(1)
	global_store_dword v[3:4], v5, off offset:1344
	global_store_dword v[3:4], v6, off offset:2024
	s_waitcnt lgkmcnt(0)
	global_store_dword v[3:4], v7, off offset:2704
	global_store_dword v[3:4], v8, off offset:3384
	s_and_b64 exec, exec, vcc
	s_cbranch_execz .LBB0_24
; %bb.23:
	v_mov_b32_e32 v0, 0
	ds_read_b32 v3, v0 offset:8160
	v_add_co_u32_e32 v0, vcc, 0x1000, v2
	v_addc_co_u32_e32 v1, vcc, 0, v1, vcc
	s_waitcnt lgkmcnt(0)
	global_store_dword v[0:1], v3, off offset:4064
.LBB0_24:
	s_endpgm
	.section	.rodata,"a",@progbits
	.p2align	6, 0x0
	.amdhsa_kernel fft_rtc_back_len2040_factors_17_4_3_10_wgs_170_tpt_170_halfLds_half_ip_CI_unitstride_sbrr_R2C_dirReg
		.amdhsa_group_segment_fixed_size 0
		.amdhsa_private_segment_fixed_size 0
		.amdhsa_kernarg_size 88
		.amdhsa_user_sgpr_count 6
		.amdhsa_user_sgpr_private_segment_buffer 1
		.amdhsa_user_sgpr_dispatch_ptr 0
		.amdhsa_user_sgpr_queue_ptr 0
		.amdhsa_user_sgpr_kernarg_segment_ptr 1
		.amdhsa_user_sgpr_dispatch_id 0
		.amdhsa_user_sgpr_flat_scratch_init 0
		.amdhsa_user_sgpr_private_segment_size 0
		.amdhsa_uses_dynamic_stack 0
		.amdhsa_system_sgpr_private_segment_wavefront_offset 0
		.amdhsa_system_sgpr_workgroup_id_x 1
		.amdhsa_system_sgpr_workgroup_id_y 0
		.amdhsa_system_sgpr_workgroup_id_z 0
		.amdhsa_system_sgpr_workgroup_info 0
		.amdhsa_system_vgpr_workitem_id 0
		.amdhsa_next_free_vgpr 239
		.amdhsa_next_free_sgpr 30
		.amdhsa_reserve_vcc 1
		.amdhsa_reserve_flat_scratch 0
		.amdhsa_float_round_mode_32 0
		.amdhsa_float_round_mode_16_64 0
		.amdhsa_float_denorm_mode_32 3
		.amdhsa_float_denorm_mode_16_64 3
		.amdhsa_dx10_clamp 1
		.amdhsa_ieee_mode 1
		.amdhsa_fp16_overflow 0
		.amdhsa_exception_fp_ieee_invalid_op 0
		.amdhsa_exception_fp_denorm_src 0
		.amdhsa_exception_fp_ieee_div_zero 0
		.amdhsa_exception_fp_ieee_overflow 0
		.amdhsa_exception_fp_ieee_underflow 0
		.amdhsa_exception_fp_ieee_inexact 0
		.amdhsa_exception_int_div_zero 0
	.end_amdhsa_kernel
	.text
.Lfunc_end0:
	.size	fft_rtc_back_len2040_factors_17_4_3_10_wgs_170_tpt_170_halfLds_half_ip_CI_unitstride_sbrr_R2C_dirReg, .Lfunc_end0-fft_rtc_back_len2040_factors_17_4_3_10_wgs_170_tpt_170_halfLds_half_ip_CI_unitstride_sbrr_R2C_dirReg
                                        ; -- End function
	.section	.AMDGPU.csdata,"",@progbits
; Kernel info:
; codeLenInByte = 13288
; NumSgprs: 34
; NumVgprs: 239
; ScratchSize: 0
; MemoryBound: 0
; FloatMode: 240
; IeeeMode: 1
; LDSByteSize: 0 bytes/workgroup (compile time only)
; SGPRBlocks: 4
; VGPRBlocks: 59
; NumSGPRsForWavesPerEU: 34
; NumVGPRsForWavesPerEU: 239
; Occupancy: 1
; WaveLimiterHint : 1
; COMPUTE_PGM_RSRC2:SCRATCH_EN: 0
; COMPUTE_PGM_RSRC2:USER_SGPR: 6
; COMPUTE_PGM_RSRC2:TRAP_HANDLER: 0
; COMPUTE_PGM_RSRC2:TGID_X_EN: 1
; COMPUTE_PGM_RSRC2:TGID_Y_EN: 0
; COMPUTE_PGM_RSRC2:TGID_Z_EN: 0
; COMPUTE_PGM_RSRC2:TIDIG_COMP_CNT: 0
	.type	__hip_cuid_1cf12ee0f19eff46,@object ; @__hip_cuid_1cf12ee0f19eff46
	.section	.bss,"aw",@nobits
	.globl	__hip_cuid_1cf12ee0f19eff46
__hip_cuid_1cf12ee0f19eff46:
	.byte	0                               ; 0x0
	.size	__hip_cuid_1cf12ee0f19eff46, 1

	.ident	"AMD clang version 19.0.0git (https://github.com/RadeonOpenCompute/llvm-project roc-6.4.0 25133 c7fe45cf4b819c5991fe208aaa96edf142730f1d)"
	.section	".note.GNU-stack","",@progbits
	.addrsig
	.addrsig_sym __hip_cuid_1cf12ee0f19eff46
	.amdgpu_metadata
---
amdhsa.kernels:
  - .args:
      - .actual_access:  read_only
        .address_space:  global
        .offset:         0
        .size:           8
        .value_kind:     global_buffer
      - .offset:         8
        .size:           8
        .value_kind:     by_value
      - .actual_access:  read_only
        .address_space:  global
        .offset:         16
        .size:           8
        .value_kind:     global_buffer
      - .actual_access:  read_only
        .address_space:  global
        .offset:         24
        .size:           8
        .value_kind:     global_buffer
      - .offset:         32
        .size:           8
        .value_kind:     by_value
      - .actual_access:  read_only
        .address_space:  global
        .offset:         40
        .size:           8
        .value_kind:     global_buffer
      - .actual_access:  read_only
        .address_space:  global
        .offset:         48
        .size:           8
        .value_kind:     global_buffer
      - .offset:         56
        .size:           4
        .value_kind:     by_value
      - .actual_access:  read_only
        .address_space:  global
        .offset:         64
        .size:           8
        .value_kind:     global_buffer
      - .actual_access:  read_only
        .address_space:  global
        .offset:         72
        .size:           8
        .value_kind:     global_buffer
      - .address_space:  global
        .offset:         80
        .size:           8
        .value_kind:     global_buffer
    .group_segment_fixed_size: 0
    .kernarg_segment_align: 8
    .kernarg_segment_size: 88
    .language:       OpenCL C
    .language_version:
      - 2
      - 0
    .max_flat_workgroup_size: 170
    .name:           fft_rtc_back_len2040_factors_17_4_3_10_wgs_170_tpt_170_halfLds_half_ip_CI_unitstride_sbrr_R2C_dirReg
    .private_segment_fixed_size: 0
    .sgpr_count:     34
    .sgpr_spill_count: 0
    .symbol:         fft_rtc_back_len2040_factors_17_4_3_10_wgs_170_tpt_170_halfLds_half_ip_CI_unitstride_sbrr_R2C_dirReg.kd
    .uniform_work_group_size: 1
    .uses_dynamic_stack: false
    .vgpr_count:     239
    .vgpr_spill_count: 0
    .wavefront_size: 64
amdhsa.target:   amdgcn-amd-amdhsa--gfx906
amdhsa.version:
  - 1
  - 2
...

	.end_amdgpu_metadata
